;; amdgpu-corpus repo=ROCm/rocFFT kind=compiled arch=gfx1201 opt=O3
	.text
	.amdgcn_target "amdgcn-amd-amdhsa--gfx1201"
	.amdhsa_code_object_version 6
	.protected	fft_rtc_fwd_len1870_factors_17_10_11_wgs_187_tpt_187_halfLds_dp_ip_CI_unitstride_sbrr_C2R_dirReg ; -- Begin function fft_rtc_fwd_len1870_factors_17_10_11_wgs_187_tpt_187_halfLds_dp_ip_CI_unitstride_sbrr_C2R_dirReg
	.globl	fft_rtc_fwd_len1870_factors_17_10_11_wgs_187_tpt_187_halfLds_dp_ip_CI_unitstride_sbrr_C2R_dirReg
	.p2align	8
	.type	fft_rtc_fwd_len1870_factors_17_10_11_wgs_187_tpt_187_halfLds_dp_ip_CI_unitstride_sbrr_C2R_dirReg,@function
fft_rtc_fwd_len1870_factors_17_10_11_wgs_187_tpt_187_halfLds_dp_ip_CI_unitstride_sbrr_C2R_dirReg: ; @fft_rtc_fwd_len1870_factors_17_10_11_wgs_187_tpt_187_halfLds_dp_ip_CI_unitstride_sbrr_C2R_dirReg
; %bb.0:
	s_clause 0x2
	s_load_b128 s[4:7], s[0:1], 0x0
	s_load_b64 s[8:9], s[0:1], 0x50
	s_load_b64 s[10:11], s[0:1], 0x18
	v_mul_u32_u24_e32 v1, 0x15f, v0
	v_mov_b32_e32 v3, 0
	s_delay_alu instid0(VALU_DEP_2) | instskip(NEXT) | instid1(VALU_DEP_1)
	v_lshrrev_b32_e32 v1, 16, v1
	v_add_nc_u32_e32 v5, ttmp9, v1
	v_mov_b32_e32 v1, 0
	v_mov_b32_e32 v2, 0
	;; [unrolled: 1-line block ×3, first 2 shown]
	s_wait_kmcnt 0x0
	v_cmp_lt_u64_e64 s2, s[6:7], 2
	s_delay_alu instid0(VALU_DEP_1)
	s_and_b32 vcc_lo, exec_lo, s2
	s_cbranch_vccnz .LBB0_8
; %bb.1:
	s_load_b64 s[2:3], s[0:1], 0x10
	v_mov_b32_e32 v1, 0
	v_mov_b32_e32 v2, 0
	s_add_nc_u64 s[12:13], s[10:11], 8
	s_mov_b64 s[14:15], 1
	s_wait_kmcnt 0x0
	s_add_nc_u64 s[16:17], s[2:3], 8
	s_mov_b32 s3, 0
.LBB0_2:                                ; =>This Inner Loop Header: Depth=1
	s_load_b64 s[18:19], s[16:17], 0x0
                                        ; implicit-def: $vgpr7_vgpr8
	s_mov_b32 s2, exec_lo
	s_wait_kmcnt 0x0
	v_or_b32_e32 v4, s19, v6
	s_delay_alu instid0(VALU_DEP_1)
	v_cmpx_ne_u64_e32 0, v[3:4]
	s_wait_alu 0xfffe
	s_xor_b32 s20, exec_lo, s2
	s_cbranch_execz .LBB0_4
; %bb.3:                                ;   in Loop: Header=BB0_2 Depth=1
	s_cvt_f32_u32 s2, s18
	s_cvt_f32_u32 s21, s19
	s_sub_nc_u64 s[24:25], 0, s[18:19]
	s_wait_alu 0xfffe
	s_delay_alu instid0(SALU_CYCLE_1) | instskip(SKIP_1) | instid1(SALU_CYCLE_2)
	s_fmamk_f32 s2, s21, 0x4f800000, s2
	s_wait_alu 0xfffe
	v_s_rcp_f32 s2, s2
	s_delay_alu instid0(TRANS32_DEP_1) | instskip(SKIP_1) | instid1(SALU_CYCLE_2)
	s_mul_f32 s2, s2, 0x5f7ffffc
	s_wait_alu 0xfffe
	s_mul_f32 s21, s2, 0x2f800000
	s_wait_alu 0xfffe
	s_delay_alu instid0(SALU_CYCLE_2) | instskip(SKIP_1) | instid1(SALU_CYCLE_2)
	s_trunc_f32 s21, s21
	s_wait_alu 0xfffe
	s_fmamk_f32 s2, s21, 0xcf800000, s2
	s_cvt_u32_f32 s23, s21
	s_wait_alu 0xfffe
	s_delay_alu instid0(SALU_CYCLE_1) | instskip(SKIP_1) | instid1(SALU_CYCLE_2)
	s_cvt_u32_f32 s22, s2
	s_wait_alu 0xfffe
	s_mul_u64 s[26:27], s[24:25], s[22:23]
	s_wait_alu 0xfffe
	s_mul_hi_u32 s29, s22, s27
	s_mul_i32 s28, s22, s27
	s_mul_hi_u32 s2, s22, s26
	s_mul_i32 s30, s23, s26
	s_wait_alu 0xfffe
	s_add_nc_u64 s[28:29], s[2:3], s[28:29]
	s_mul_hi_u32 s21, s23, s26
	s_mul_hi_u32 s31, s23, s27
	s_add_co_u32 s2, s28, s30
	s_wait_alu 0xfffe
	s_add_co_ci_u32 s2, s29, s21
	s_mul_i32 s26, s23, s27
	s_add_co_ci_u32 s27, s31, 0
	s_wait_alu 0xfffe
	s_add_nc_u64 s[26:27], s[2:3], s[26:27]
	s_wait_alu 0xfffe
	v_add_co_u32 v4, s2, s22, s26
	s_delay_alu instid0(VALU_DEP_1) | instskip(SKIP_1) | instid1(VALU_DEP_1)
	s_cmp_lg_u32 s2, 0
	s_add_co_ci_u32 s23, s23, s27
	v_readfirstlane_b32 s22, v4
	s_wait_alu 0xfffe
	s_delay_alu instid0(VALU_DEP_1)
	s_mul_u64 s[24:25], s[24:25], s[22:23]
	s_wait_alu 0xfffe
	s_mul_hi_u32 s27, s22, s25
	s_mul_i32 s26, s22, s25
	s_mul_hi_u32 s2, s22, s24
	s_mul_i32 s28, s23, s24
	s_wait_alu 0xfffe
	s_add_nc_u64 s[26:27], s[2:3], s[26:27]
	s_mul_hi_u32 s21, s23, s24
	s_mul_hi_u32 s22, s23, s25
	s_wait_alu 0xfffe
	s_add_co_u32 s2, s26, s28
	s_add_co_ci_u32 s2, s27, s21
	s_mul_i32 s24, s23, s25
	s_add_co_ci_u32 s25, s22, 0
	s_wait_alu 0xfffe
	s_add_nc_u64 s[24:25], s[2:3], s[24:25]
	s_wait_alu 0xfffe
	v_add_co_u32 v4, s2, v4, s24
	s_delay_alu instid0(VALU_DEP_1) | instskip(SKIP_1) | instid1(VALU_DEP_1)
	s_cmp_lg_u32 s2, 0
	s_add_co_ci_u32 s2, s23, s25
	v_mul_hi_u32 v13, v5, v4
	s_wait_alu 0xfffe
	v_mad_co_u64_u32 v[7:8], null, v5, s2, 0
	v_mad_co_u64_u32 v[9:10], null, v6, v4, 0
	;; [unrolled: 1-line block ×3, first 2 shown]
	s_delay_alu instid0(VALU_DEP_3) | instskip(SKIP_1) | instid1(VALU_DEP_4)
	v_add_co_u32 v4, vcc_lo, v13, v7
	s_wait_alu 0xfffd
	v_add_co_ci_u32_e32 v7, vcc_lo, 0, v8, vcc_lo
	s_delay_alu instid0(VALU_DEP_2) | instskip(SKIP_1) | instid1(VALU_DEP_2)
	v_add_co_u32 v4, vcc_lo, v4, v9
	s_wait_alu 0xfffd
	v_add_co_ci_u32_e32 v4, vcc_lo, v7, v10, vcc_lo
	s_wait_alu 0xfffd
	v_add_co_ci_u32_e32 v7, vcc_lo, 0, v12, vcc_lo
	s_delay_alu instid0(VALU_DEP_2) | instskip(SKIP_1) | instid1(VALU_DEP_2)
	v_add_co_u32 v4, vcc_lo, v4, v11
	s_wait_alu 0xfffd
	v_add_co_ci_u32_e32 v9, vcc_lo, 0, v7, vcc_lo
	s_delay_alu instid0(VALU_DEP_2) | instskip(SKIP_1) | instid1(VALU_DEP_3)
	v_mul_lo_u32 v10, s19, v4
	v_mad_co_u64_u32 v[7:8], null, s18, v4, 0
	v_mul_lo_u32 v11, s18, v9
	s_delay_alu instid0(VALU_DEP_2) | instskip(NEXT) | instid1(VALU_DEP_2)
	v_sub_co_u32 v7, vcc_lo, v5, v7
	v_add3_u32 v8, v8, v11, v10
	s_delay_alu instid0(VALU_DEP_1) | instskip(SKIP_1) | instid1(VALU_DEP_1)
	v_sub_nc_u32_e32 v10, v6, v8
	s_wait_alu 0xfffd
	v_subrev_co_ci_u32_e64 v10, s2, s19, v10, vcc_lo
	v_add_co_u32 v11, s2, v4, 2
	s_wait_alu 0xf1ff
	v_add_co_ci_u32_e64 v12, s2, 0, v9, s2
	v_sub_co_u32 v13, s2, v7, s18
	v_sub_co_ci_u32_e32 v8, vcc_lo, v6, v8, vcc_lo
	s_wait_alu 0xf1ff
	v_subrev_co_ci_u32_e64 v10, s2, 0, v10, s2
	s_delay_alu instid0(VALU_DEP_3) | instskip(NEXT) | instid1(VALU_DEP_3)
	v_cmp_le_u32_e32 vcc_lo, s18, v13
	v_cmp_eq_u32_e64 s2, s19, v8
	s_wait_alu 0xfffd
	v_cndmask_b32_e64 v13, 0, -1, vcc_lo
	v_cmp_le_u32_e32 vcc_lo, s19, v10
	s_wait_alu 0xfffd
	v_cndmask_b32_e64 v14, 0, -1, vcc_lo
	v_cmp_le_u32_e32 vcc_lo, s18, v7
	;; [unrolled: 3-line block ×3, first 2 shown]
	s_wait_alu 0xfffd
	v_cndmask_b32_e64 v15, 0, -1, vcc_lo
	v_cmp_eq_u32_e32 vcc_lo, s19, v10
	s_wait_alu 0xf1ff
	s_delay_alu instid0(VALU_DEP_2)
	v_cndmask_b32_e64 v7, v15, v7, s2
	s_wait_alu 0xfffd
	v_cndmask_b32_e32 v10, v14, v13, vcc_lo
	v_add_co_u32 v13, vcc_lo, v4, 1
	s_wait_alu 0xfffd
	v_add_co_ci_u32_e32 v14, vcc_lo, 0, v9, vcc_lo
	s_delay_alu instid0(VALU_DEP_3) | instskip(SKIP_2) | instid1(VALU_DEP_3)
	v_cmp_ne_u32_e32 vcc_lo, 0, v10
	s_wait_alu 0xfffd
	v_cndmask_b32_e32 v10, v13, v11, vcc_lo
	v_cndmask_b32_e32 v8, v14, v12, vcc_lo
	v_cmp_ne_u32_e32 vcc_lo, 0, v7
	s_wait_alu 0xfffd
	s_delay_alu instid0(VALU_DEP_2)
	v_dual_cndmask_b32 v7, v4, v10 :: v_dual_cndmask_b32 v8, v9, v8
.LBB0_4:                                ;   in Loop: Header=BB0_2 Depth=1
	s_wait_alu 0xfffe
	s_and_not1_saveexec_b32 s2, s20
	s_cbranch_execz .LBB0_6
; %bb.5:                                ;   in Loop: Header=BB0_2 Depth=1
	v_cvt_f32_u32_e32 v4, s18
	s_sub_co_i32 s20, 0, s18
	s_delay_alu instid0(VALU_DEP_1) | instskip(NEXT) | instid1(TRANS32_DEP_1)
	v_rcp_iflag_f32_e32 v4, v4
	v_mul_f32_e32 v4, 0x4f7ffffe, v4
	s_delay_alu instid0(VALU_DEP_1) | instskip(SKIP_1) | instid1(VALU_DEP_1)
	v_cvt_u32_f32_e32 v4, v4
	s_wait_alu 0xfffe
	v_mul_lo_u32 v7, s20, v4
	s_delay_alu instid0(VALU_DEP_1) | instskip(NEXT) | instid1(VALU_DEP_1)
	v_mul_hi_u32 v7, v4, v7
	v_add_nc_u32_e32 v4, v4, v7
	s_delay_alu instid0(VALU_DEP_1) | instskip(NEXT) | instid1(VALU_DEP_1)
	v_mul_hi_u32 v4, v5, v4
	v_mul_lo_u32 v7, v4, s18
	v_add_nc_u32_e32 v8, 1, v4
	s_delay_alu instid0(VALU_DEP_2) | instskip(NEXT) | instid1(VALU_DEP_1)
	v_sub_nc_u32_e32 v7, v5, v7
	v_subrev_nc_u32_e32 v9, s18, v7
	v_cmp_le_u32_e32 vcc_lo, s18, v7
	s_wait_alu 0xfffd
	s_delay_alu instid0(VALU_DEP_2) | instskip(NEXT) | instid1(VALU_DEP_1)
	v_dual_cndmask_b32 v7, v7, v9 :: v_dual_cndmask_b32 v4, v4, v8
	v_cmp_le_u32_e32 vcc_lo, s18, v7
	s_delay_alu instid0(VALU_DEP_2) | instskip(SKIP_1) | instid1(VALU_DEP_1)
	v_add_nc_u32_e32 v8, 1, v4
	s_wait_alu 0xfffd
	v_dual_cndmask_b32 v7, v4, v8 :: v_dual_mov_b32 v8, v3
.LBB0_6:                                ;   in Loop: Header=BB0_2 Depth=1
	s_wait_alu 0xfffe
	s_or_b32 exec_lo, exec_lo, s2
	s_load_b64 s[20:21], s[12:13], 0x0
	s_delay_alu instid0(VALU_DEP_1)
	v_mul_lo_u32 v4, v8, s18
	v_mul_lo_u32 v11, v7, s19
	v_mad_co_u64_u32 v[9:10], null, v7, s18, 0
	s_add_nc_u64 s[14:15], s[14:15], 1
	s_add_nc_u64 s[12:13], s[12:13], 8
	s_wait_alu 0xfffe
	v_cmp_ge_u64_e64 s2, s[14:15], s[6:7]
	s_add_nc_u64 s[16:17], s[16:17], 8
	s_delay_alu instid0(VALU_DEP_2) | instskip(NEXT) | instid1(VALU_DEP_3)
	v_add3_u32 v4, v10, v11, v4
	v_sub_co_u32 v5, vcc_lo, v5, v9
	s_wait_alu 0xfffd
	s_delay_alu instid0(VALU_DEP_2) | instskip(SKIP_3) | instid1(VALU_DEP_2)
	v_sub_co_ci_u32_e32 v4, vcc_lo, v6, v4, vcc_lo
	s_and_b32 vcc_lo, exec_lo, s2
	s_wait_kmcnt 0x0
	v_mul_lo_u32 v6, s21, v5
	v_mul_lo_u32 v4, s20, v4
	v_mad_co_u64_u32 v[1:2], null, s20, v5, v[1:2]
	s_delay_alu instid0(VALU_DEP_1)
	v_add3_u32 v2, v6, v2, v4
	s_wait_alu 0xfffe
	s_cbranch_vccnz .LBB0_9
; %bb.7:                                ;   in Loop: Header=BB0_2 Depth=1
	v_dual_mov_b32 v5, v7 :: v_dual_mov_b32 v6, v8
	s_branch .LBB0_2
.LBB0_8:
	v_dual_mov_b32 v8, v6 :: v_dual_mov_b32 v7, v5
.LBB0_9:
	s_lshl_b64 s[2:3], s[6:7], 3
	v_mul_hi_u32 v5, 0x15e75bc, v0
	s_wait_alu 0xfffe
	s_add_nc_u64 s[2:3], s[10:11], s[2:3]
	s_load_b64 s[2:3], s[2:3], 0x0
	s_load_b64 s[0:1], s[0:1], 0x20
	s_wait_kmcnt 0x0
	v_mul_lo_u32 v3, s2, v8
	v_mul_lo_u32 v4, s3, v7
	v_mad_co_u64_u32 v[1:2], null, s2, v7, v[1:2]
	v_cmp_gt_u64_e32 vcc_lo, s[0:1], v[7:8]
	s_delay_alu instid0(VALU_DEP_2) | instskip(SKIP_1) | instid1(VALU_DEP_2)
	v_add3_u32 v2, v4, v2, v3
	v_mul_u32_u24_e32 v3, 0xbb, v5
	v_lshlrev_b64_e32 v[74:75], 4, v[1:2]
	s_delay_alu instid0(VALU_DEP_2)
	v_sub_nc_u32_e32 v72, v0, v3
	s_and_saveexec_b32 s1, vcc_lo
	s_cbranch_execz .LBB0_13
; %bb.10:
	v_mov_b32_e32 v73, 0
	s_delay_alu instid0(VALU_DEP_3) | instskip(SKIP_2) | instid1(VALU_DEP_3)
	v_add_co_u32 v0, s0, s8, v74
	s_wait_alu 0xf1ff
	v_add_co_ci_u32_e64 v1, s0, s9, v75, s0
	v_lshlrev_b64_e32 v[2:3], 4, v[72:73]
	v_lshl_add_u32 v42, v72, 4, 0
	s_mov_b32 s2, exec_lo
	s_delay_alu instid0(VALU_DEP_2) | instskip(SKIP_1) | instid1(VALU_DEP_3)
	v_add_co_u32 v38, s0, v0, v2
	s_wait_alu 0xf1ff
	v_add_co_ci_u32_e64 v39, s0, v1, v3, s0
	s_clause 0x9
	global_load_b128 v[2:5], v[38:39], off
	global_load_b128 v[6:9], v[38:39], off offset:2992
	global_load_b128 v[10:13], v[38:39], off offset:5984
	;; [unrolled: 1-line block ×9, first 2 shown]
	s_wait_loadcnt 0x9
	ds_store_b128 v42, v[2:5]
	s_wait_loadcnt 0x8
	ds_store_b128 v42, v[6:9] offset:2992
	s_wait_loadcnt 0x7
	ds_store_b128 v42, v[10:13] offset:5984
	;; [unrolled: 2-line block ×9, first 2 shown]
	v_cmpx_eq_u32_e32 0xba, v72
	s_cbranch_execz .LBB0_12
; %bb.11:
	global_load_b128 v[0:3], v[0:1], off offset:29920
	v_mov_b32_e32 v72, 0xba
	s_wait_loadcnt 0x0
	ds_store_b128 v73, v[0:3] offset:29920
.LBB0_12:
	s_wait_alu 0xfffe
	s_or_b32 exec_lo, exec_lo, s2
.LBB0_13:
	s_wait_alu 0xfffe
	s_or_b32 exec_lo, exec_lo, s1
	v_lshlrev_b32_e32 v0, 4, v72
	global_wb scope:SCOPE_SE
	s_wait_dscnt 0x0
	s_barrier_signal -1
	s_barrier_wait -1
	global_inv scope:SCOPE_SE
	v_add_nc_u32_e32 v172, 0, v0
	v_sub_nc_u32_e32 v10, 0, v0
	s_mov_b32 s1, exec_lo
                                        ; implicit-def: $vgpr4_vgpr5
	ds_load_b64 v[6:7], v172
	ds_load_b64 v[8:9], v10 offset:29920
	s_wait_dscnt 0x0
	v_add_f64_e32 v[0:1], v[6:7], v[8:9]
	v_add_f64_e64 v[2:3], v[6:7], -v[8:9]
	v_cmpx_ne_u32_e32 0, v72
	s_wait_alu 0xfffe
	s_xor_b32 s1, exec_lo, s1
	s_cbranch_execz .LBB0_15
; %bb.14:
	v_mov_b32_e32 v73, 0
	v_add_f64_e32 v[13:14], v[6:7], v[8:9]
	v_add_f64_e64 v[15:16], v[6:7], -v[8:9]
	s_delay_alu instid0(VALU_DEP_3) | instskip(NEXT) | instid1(VALU_DEP_1)
	v_lshlrev_b64_e32 v[0:1], 4, v[72:73]
	v_add_co_u32 v0, s0, s4, v0
	s_wait_alu 0xf1ff
	s_delay_alu instid0(VALU_DEP_2)
	v_add_co_ci_u32_e64 v1, s0, s5, v1, s0
	global_load_b128 v[2:5], v[0:1], off offset:29648
	ds_load_b64 v[0:1], v10 offset:29928
	ds_load_b64 v[11:12], v172 offset:8
	s_wait_dscnt 0x0
	v_add_f64_e32 v[6:7], v[0:1], v[11:12]
	v_add_f64_e64 v[0:1], v[11:12], -v[0:1]
	s_wait_loadcnt 0x0
	v_fma_f64 v[8:9], v[15:16], v[4:5], v[13:14]
	v_fma_f64 v[11:12], -v[15:16], v[4:5], v[13:14]
	s_delay_alu instid0(VALU_DEP_3) | instskip(SKIP_1) | instid1(VALU_DEP_4)
	v_fma_f64 v[13:14], v[6:7], v[4:5], -v[0:1]
	v_fma_f64 v[4:5], v[6:7], v[4:5], v[0:1]
	v_fma_f64 v[0:1], -v[6:7], v[2:3], v[8:9]
	s_delay_alu instid0(VALU_DEP_4) | instskip(NEXT) | instid1(VALU_DEP_4)
	v_fma_f64 v[6:7], v[6:7], v[2:3], v[11:12]
	v_fma_f64 v[8:9], v[15:16], v[2:3], v[13:14]
	s_delay_alu instid0(VALU_DEP_4)
	v_fma_f64 v[2:3], v[15:16], v[2:3], v[4:5]
	v_dual_mov_b32 v4, v72 :: v_dual_mov_b32 v5, v73
	ds_store_b128 v10, v[6:9] offset:29920
.LBB0_15:
	s_wait_alu 0xfffe
	s_and_not1_saveexec_b32 s0, s1
	s_cbranch_execz .LBB0_17
; %bb.16:
	v_mov_b32_e32 v8, 0
	ds_load_b128 v[4:7], v8 offset:14960
	s_wait_dscnt 0x0
	v_add_f64_e32 v[11:12], v[4:5], v[4:5]
	v_mul_f64_e32 v[13:14], -2.0, v[6:7]
	v_mov_b32_e32 v4, 0
	v_mov_b32_e32 v5, 0
	ds_store_b128 v8, v[11:14] offset:14960
.LBB0_17:
	s_wait_alu 0xfffe
	s_or_b32 exec_lo, exec_lo, s0
	v_lshlrev_b64_e32 v[4:5], 4, v[4:5]
	s_add_nc_u64 s[0:1], s[4:5], 0x73d0
	s_mov_b32 s6, 0x4363dd80
	s_mov_b32 s7, 0xbfe0d888
	;; [unrolled: 1-line block ×4, first 2 shown]
	s_wait_alu 0xfffe
	v_add_co_u32 v23, s0, s0, v4
	s_wait_alu 0xf1ff
	v_add_co_ci_u32_e64 v24, s0, s1, v5, s0
	s_mov_b32 s3, 0xbfeb34fa
	s_mov_b32 s11, 0x3feca52d
	;; [unrolled: 1-line block ×3, first 2 shown]
	s_clause 0x1
	global_load_b128 v[4:7], v[23:24], off offset:2992
	global_load_b128 v[11:14], v[23:24], off offset:5984
	ds_store_b128 v172, v[0:3]
	ds_load_b128 v[0:3], v172 offset:2992
	ds_load_b128 v[15:18], v10 offset:26928
	global_load_b128 v[19:22], v[23:24], off offset:8976
	s_mov_b32 s14, 0xeb564b22
	s_mov_b32 s13, 0x3fdc86fa
	;; [unrolled: 1-line block ×18, first 2 shown]
	s_wait_dscnt 0x0
	v_add_f64_e32 v[8:9], v[0:1], v[15:16]
	v_add_f64_e32 v[25:26], v[17:18], v[2:3]
	v_add_f64_e64 v[15:16], v[0:1], -v[15:16]
	v_add_f64_e64 v[0:1], v[2:3], -v[17:18]
	s_mov_b32 s31, 0x3fe58eea
	s_mov_b32 s34, 0x75d4884
	;; [unrolled: 1-line block ×7, first 2 shown]
	s_mov_b32 s33, exec_lo
	s_wait_loadcnt 0x2
	s_delay_alu instid0(VALU_DEP_2) | instskip(NEXT) | instid1(VALU_DEP_2)
	v_fma_f64 v[2:3], v[15:16], v[6:7], v[8:9]
	v_fma_f64 v[17:18], v[25:26], v[6:7], v[0:1]
	v_fma_f64 v[8:9], -v[15:16], v[6:7], v[8:9]
	v_fma_f64 v[27:28], v[25:26], v[6:7], -v[0:1]
	s_delay_alu instid0(VALU_DEP_4) | instskip(NEXT) | instid1(VALU_DEP_4)
	v_fma_f64 v[0:1], -v[25:26], v[4:5], v[2:3]
	v_fma_f64 v[2:3], v[15:16], v[4:5], v[17:18]
	s_delay_alu instid0(VALU_DEP_4) | instskip(NEXT) | instid1(VALU_DEP_4)
	v_fma_f64 v[6:7], v[25:26], v[4:5], v[8:9]
	v_fma_f64 v[8:9], v[15:16], v[4:5], v[27:28]
	ds_store_b128 v172, v[0:3] offset:2992
	ds_store_b128 v10, v[6:9] offset:26928
	ds_load_b128 v[0:3], v172 offset:5984
	ds_load_b128 v[4:7], v10 offset:23936
	global_load_b128 v[15:18], v[23:24], off offset:11968
	s_wait_dscnt 0x0
	v_add_f64_e32 v[8:9], v[0:1], v[4:5]
	v_add_f64_e32 v[23:24], v[6:7], v[2:3]
	v_add_f64_e64 v[25:26], v[0:1], -v[4:5]
	v_add_f64_e64 v[0:1], v[2:3], -v[6:7]
	s_wait_loadcnt 0x2
	s_delay_alu instid0(VALU_DEP_2) | instskip(NEXT) | instid1(VALU_DEP_2)
	v_fma_f64 v[2:3], v[25:26], v[13:14], v[8:9]
	v_fma_f64 v[4:5], v[23:24], v[13:14], v[0:1]
	v_fma_f64 v[6:7], -v[25:26], v[13:14], v[8:9]
	v_fma_f64 v[8:9], v[23:24], v[13:14], -v[0:1]
	s_delay_alu instid0(VALU_DEP_4) | instskip(NEXT) | instid1(VALU_DEP_4)
	v_fma_f64 v[0:1], -v[23:24], v[11:12], v[2:3]
	v_fma_f64 v[2:3], v[25:26], v[11:12], v[4:5]
	s_delay_alu instid0(VALU_DEP_4) | instskip(NEXT) | instid1(VALU_DEP_4)
	v_fma_f64 v[4:5], v[23:24], v[11:12], v[6:7]
	v_fma_f64 v[6:7], v[25:26], v[11:12], v[8:9]
	ds_store_b128 v172, v[0:3] offset:5984
	ds_store_b128 v10, v[4:7] offset:23936
	ds_load_b128 v[0:3], v172 offset:8976
	ds_load_b128 v[4:7], v10 offset:20944
	s_wait_dscnt 0x0
	v_add_f64_e32 v[8:9], v[0:1], v[4:5]
	v_add_f64_e32 v[11:12], v[6:7], v[2:3]
	v_add_f64_e64 v[13:14], v[0:1], -v[4:5]
	v_add_f64_e64 v[0:1], v[2:3], -v[6:7]
	s_wait_loadcnt 0x1
	s_delay_alu instid0(VALU_DEP_2) | instskip(NEXT) | instid1(VALU_DEP_2)
	v_fma_f64 v[2:3], v[13:14], v[21:22], v[8:9]
	v_fma_f64 v[4:5], v[11:12], v[21:22], v[0:1]
	v_fma_f64 v[6:7], -v[13:14], v[21:22], v[8:9]
	v_fma_f64 v[8:9], v[11:12], v[21:22], -v[0:1]
	s_delay_alu instid0(VALU_DEP_4) | instskip(NEXT) | instid1(VALU_DEP_4)
	v_fma_f64 v[0:1], -v[11:12], v[19:20], v[2:3]
	v_fma_f64 v[2:3], v[13:14], v[19:20], v[4:5]
	s_delay_alu instid0(VALU_DEP_4) | instskip(NEXT) | instid1(VALU_DEP_4)
	v_fma_f64 v[4:5], v[11:12], v[19:20], v[6:7]
	v_fma_f64 v[6:7], v[13:14], v[19:20], v[8:9]
	ds_store_b128 v172, v[0:3] offset:8976
	ds_store_b128 v10, v[4:7] offset:20944
	ds_load_b128 v[0:3], v172 offset:11968
	ds_load_b128 v[4:7], v10 offset:17952
	s_wait_dscnt 0x0
	v_add_f64_e32 v[8:9], v[0:1], v[4:5]
	v_add_f64_e32 v[11:12], v[6:7], v[2:3]
	v_add_f64_e64 v[13:14], v[0:1], -v[4:5]
	v_add_f64_e64 v[0:1], v[2:3], -v[6:7]
	s_wait_loadcnt 0x0
	s_delay_alu instid0(VALU_DEP_2) | instskip(NEXT) | instid1(VALU_DEP_2)
	v_fma_f64 v[2:3], v[13:14], v[17:18], v[8:9]
	v_fma_f64 v[4:5], v[11:12], v[17:18], v[0:1]
	v_fma_f64 v[6:7], -v[13:14], v[17:18], v[8:9]
	v_fma_f64 v[8:9], v[11:12], v[17:18], -v[0:1]
	s_delay_alu instid0(VALU_DEP_4) | instskip(NEXT) | instid1(VALU_DEP_4)
	v_fma_f64 v[0:1], -v[11:12], v[15:16], v[2:3]
	v_fma_f64 v[2:3], v[13:14], v[15:16], v[4:5]
	s_delay_alu instid0(VALU_DEP_4) | instskip(NEXT) | instid1(VALU_DEP_4)
	v_fma_f64 v[4:5], v[11:12], v[15:16], v[6:7]
	v_fma_f64 v[6:7], v[13:14], v[15:16], v[8:9]
	ds_store_b128 v172, v[0:3] offset:11968
	ds_store_b128 v10, v[4:7] offset:17952
	global_wb scope:SCOPE_SE
	s_wait_dscnt 0x0
	s_barrier_signal -1
	s_barrier_wait -1
	global_inv scope:SCOPE_SE
	global_wb scope:SCOPE_SE
	s_barrier_signal -1
	s_barrier_wait -1
	global_inv scope:SCOPE_SE
	ds_load_b128 v[4:7], v172 offset:28160
	ds_load_b128 v[48:51], v172 offset:1760
	ds_load_b128 v[32:35], v172
	ds_load_b128 v[8:11], v172 offset:26400
	ds_load_b128 v[56:59], v172 offset:3520
	ds_load_b128 v[60:63], v172 offset:5280
	ds_load_b128 v[12:15], v172 offset:24640
	ds_load_b128 v[16:19], v172 offset:22880
	ds_load_b128 v[64:67], v172 offset:7040
	ds_load_b128 v[52:55], v172 offset:8800
	ds_load_b128 v[20:23], v172 offset:21120
	s_wait_dscnt 0x9
	v_add_f64_e64 v[150:151], v[50:51], -v[6:7]
	v_add_f64_e64 v[142:143], v[48:49], -v[4:5]
	v_add_f64_e32 v[138:139], v[48:49], v[4:5]
	s_wait_dscnt 0x6
	v_add_f64_e64 v[124:125], v[58:59], -v[10:11]
	v_add_f64_e32 v[160:161], v[50:51], v[6:7]
	v_add_f64_e64 v[100:101], v[56:57], -v[8:9]
	v_add_f64_e32 v[98:99], v[56:57], v[8:9]
	s_wait_dscnt 0x4
	v_add_f64_e64 v[102:103], v[62:63], -v[14:15]
	v_add_f64_e32 v[128:129], v[58:59], v[10:11]
	v_add_f64_e64 v[94:95], v[60:61], -v[12:13]
	v_add_f64_e32 v[116:117], v[60:61], v[12:13]
	v_add_f64_e32 v[126:127], v[62:63], v[14:15]
	s_wait_dscnt 0x2
	v_add_f64_e64 v[118:119], v[66:67], -v[18:19]
	v_add_f64_e64 v[104:105], v[64:65], -v[16:17]
	v_add_f64_e32 v[106:107], v[64:65], v[16:17]
	v_add_f64_e32 v[122:123], v[66:67], v[18:19]
	s_wait_dscnt 0x0
	v_add_f64_e64 v[110:111], v[54:55], -v[22:23]
	v_add_f64_e64 v[90:91], v[52:53], -v[20:21]
	v_add_f64_e32 v[108:109], v[52:53], v[20:21]
	v_add_f64_e32 v[130:131], v[54:55], v[22:23]
	v_mul_f64_e32 v[152:153], s[6:7], v[150:151]
	v_mul_f64_e32 v[154:155], s[6:7], v[142:143]
	;; [unrolled: 1-line block ×4, first 2 shown]
	s_wait_alu 0xfffe
	v_mul_f64_e32 v[136:137], s[14:15], v[102:103]
	v_mul_f64_e32 v[140:141], s[14:15], v[94:95]
	;; [unrolled: 1-line block ×6, first 2 shown]
	v_fma_f64 v[0:1], v[138:139], s[2:3], v[152:153]
	v_fma_f64 v[2:3], v[160:161], s[2:3], -v[154:155]
	v_fma_f64 v[24:25], v[98:99], s[12:13], v[132:133]
	v_fma_f64 v[26:27], v[128:129], s[12:13], -v[134:135]
	;; [unrolled: 2-line block ×5, first 2 shown]
	v_add_f64_e32 v[0:1], v[32:33], v[0:1]
	v_add_f64_e32 v[2:3], v[34:35], v[2:3]
	s_delay_alu instid0(VALU_DEP_2) | instskip(NEXT) | instid1(VALU_DEP_2)
	v_add_f64_e32 v[0:1], v[24:25], v[0:1]
	v_add_f64_e32 v[2:3], v[26:27], v[2:3]
	ds_load_b128 v[24:27], v172 offset:19360
	ds_load_b128 v[68:71], v172 offset:10560
	;; [unrolled: 1-line block ×4, first 2 shown]
	s_wait_dscnt 0x2
	v_add_f64_e64 v[112:113], v[70:71], -v[26:27]
	v_add_f64_e64 v[84:85], v[68:69], -v[24:25]
	v_add_f64_e32 v[86:87], v[68:69], v[24:25]
	v_add_f64_e32 v[120:121], v[70:71], v[26:27]
	s_wait_dscnt 0x0
	v_add_f64_e64 v[92:93], v[46:47], -v[30:31]
	v_add_f64_e64 v[78:79], v[44:45], -v[28:29]
	v_add_f64_e32 v[82:83], v[44:45], v[28:29]
	v_add_f64_e32 v[114:115], v[46:47], v[30:31]
	v_add_f64_e32 v[0:1], v[36:37], v[0:1]
	v_add_f64_e32 v[2:3], v[38:39], v[2:3]
	v_mul_f64_e32 v[158:159], s[26:27], v[112:113]
	v_mul_f64_e32 v[162:163], s[26:27], v[84:85]
	;; [unrolled: 1-line block ×4, first 2 shown]
	v_add_f64_e32 v[0:1], v[40:41], v[0:1]
	v_add_f64_e32 v[2:3], v[42:43], v[2:3]
	ds_load_b128 v[40:43], v172 offset:14080
	ds_load_b128 v[36:39], v172 offset:15840
	global_wb scope:SCOPE_SE
	s_wait_dscnt 0x0
	s_barrier_signal -1
	s_barrier_wait -1
	global_inv scope:SCOPE_SE
	v_add_f64_e64 v[88:89], v[42:43], -v[38:39]
	v_add_f64_e64 v[76:77], v[40:41], -v[36:37]
	v_fma_f64 v[173:174], v[86:87], s[28:29], v[158:159]
	v_fma_f64 v[175:176], v[120:121], s[28:29], -v[162:163]
	v_fma_f64 v[177:178], v[82:83], s[34:35], v[164:165]
	v_fma_f64 v[179:180], v[114:115], s[34:35], -v[168:169]
	v_add_f64_e32 v[0:1], v[80:81], v[0:1]
	v_add_f64_e32 v[2:3], v[96:97], v[2:3]
	;; [unrolled: 1-line block ×4, first 2 shown]
	v_mul_f64_e32 v[166:167], s[36:37], v[88:89]
	v_mul_f64_e32 v[170:171], s[36:37], v[76:77]
	v_add_f64_e32 v[0:1], v[173:174], v[0:1]
	v_add_f64_e32 v[2:3], v[175:176], v[2:3]
	s_delay_alu instid0(VALU_DEP_4) | instskip(NEXT) | instid1(VALU_DEP_4)
	v_fma_f64 v[173:174], v[80:81], s[38:39], v[166:167]
	v_fma_f64 v[175:176], v[96:97], s[38:39], -v[170:171]
	s_delay_alu instid0(VALU_DEP_4) | instskip(NEXT) | instid1(VALU_DEP_4)
	v_add_f64_e32 v[0:1], v[177:178], v[0:1]
	v_add_f64_e32 v[2:3], v[179:180], v[2:3]
	s_delay_alu instid0(VALU_DEP_2) | instskip(NEXT) | instid1(VALU_DEP_2)
	v_add_f64_e32 v[0:1], v[173:174], v[0:1]
	v_add_f64_e32 v[2:3], v[175:176], v[2:3]
	v_cmpx_gt_u32_e32 0x6e, v72
	s_cbranch_execz .LBB0_19
; %bb.18:
	v_add_f64_e32 v[50:51], v[34:35], v[50:51]
	v_add_f64_e32 v[48:49], v[32:33], v[48:49]
	s_mov_b32 s43, 0xbfe9895b
	s_mov_b32 s42, s24
	;; [unrolled: 1-line block ×14, first 2 shown]
	v_mul_f64_e32 v[173:174], s[14:15], v[150:151]
	v_mul_f64_e32 v[175:176], s[44:45], v[150:151]
	s_mov_b32 s53, 0x3fe0d888
	s_mov_b32 s52, s6
	s_delay_alu instid0(VALU_DEP_4) | instskip(NEXT) | instid1(VALU_DEP_4)
	v_add_f64_e32 v[50:51], v[50:51], v[58:59]
	v_add_f64_e32 v[48:49], v[48:49], v[56:57]
	v_mul_f64_e32 v[56:57], s[2:3], v[138:139]
	v_mul_f64_e32 v[58:59], s[26:27], v[150:151]
	v_fma_f64 v[187:188], v[138:139], s[18:19], v[173:174]
	v_fma_f64 v[173:174], v[138:139], s[18:19], -v[173:174]
	v_fma_f64 v[193:194], v[138:139], s[12:13], v[175:176]
	v_fma_f64 v[175:176], v[138:139], s[12:13], -v[175:176]
	v_add_f64_e32 v[50:51], v[50:51], v[62:63]
	v_add_f64_e32 v[48:49], v[48:49], v[60:61]
	v_mul_f64_e32 v[60:61], s[20:21], v[160:161]
	v_mul_f64_e32 v[62:63], s[38:39], v[160:161]
	v_add_f64_e64 v[56:57], v[56:57], -v[152:153]
	v_fma_f64 v[152:153], v[138:139], s[28:29], v[58:59]
	v_fma_f64 v[58:59], v[138:139], s[28:29], -v[58:59]
	v_add_f64_e32 v[187:188], v[32:33], v[187:188]
	v_add_f64_e32 v[173:174], v[32:33], v[173:174]
	;; [unrolled: 1-line block ×4, first 2 shown]
	v_mul_f64_e32 v[64:65], s[18:19], v[160:161]
	v_mul_f64_e32 v[66:67], s[36:37], v[150:151]
	v_fma_f64 v[179:180], v[142:143], s[50:51], v[62:63]
	v_fma_f64 v[62:63], v[142:143], s[36:37], v[62:63]
	v_add_f64_e32 v[201:202], v[32:33], v[56:57]
	v_add_f64_e32 v[152:153], v[32:33], v[152:153]
	;; [unrolled: 1-line block ×4, first 2 shown]
	v_mul_f64_e32 v[175:176], s[52:53], v[124:125]
	v_add_f64_e32 v[50:51], v[50:51], v[54:55]
	v_add_f64_e32 v[48:49], v[48:49], v[52:53]
	v_mul_f64_e32 v[52:53], s[28:29], v[160:161]
	v_mul_f64_e32 v[54:55], s[2:3], v[160:161]
	v_fma_f64 v[181:182], v[142:143], s[48:49], v[64:65]
	v_fma_f64 v[64:65], v[142:143], s[14:15], v[64:65]
	;; [unrolled: 1-line block ×3, first 2 shown]
	v_fma_f64 v[66:67], v[138:139], s[38:39], -v[66:67]
	v_add_f64_e32 v[179:180], v[34:35], v[179:180]
	v_add_f64_e32 v[62:63], v[34:35], v[62:63]
	v_add_f64_e32 v[50:51], v[50:51], v[70:71]
	v_add_f64_e32 v[48:49], v[48:49], v[68:69]
	v_mul_f64_e32 v[68:69], s[12:13], v[160:161]
	v_mul_f64_e32 v[70:71], s[34:35], v[160:161]
	;; [unrolled: 1-line block ×3, first 2 shown]
	s_wait_alu 0xfffe
	v_fma_f64 v[177:178], v[142:143], s[0:1], v[52:53]
	v_fma_f64 v[52:53], v[142:143], s[26:27], v[52:53]
	v_add_f64_e32 v[54:55], v[154:155], v[54:55]
	v_fma_f64 v[154:155], v[142:143], s[24:25], v[60:61]
	v_fma_f64 v[60:61], v[142:143], s[42:43], v[60:61]
	v_add_f64_e32 v[181:182], v[34:35], v[181:182]
	v_add_f64_e32 v[64:65], v[34:35], v[64:65]
	v_add_f64_e32 v[183:184], v[32:33], v[183:184]
	v_add_f64_e32 v[66:67], v[32:33], v[66:67]
	v_add_f64_e32 v[46:47], v[50:51], v[46:47]
	v_add_f64_e32 v[44:45], v[48:49], v[44:45]
	v_mul_f64_e32 v[48:49], s[16:17], v[150:151]
	v_mul_f64_e32 v[50:51], s[42:43], v[150:151]
	;; [unrolled: 1-line block ×3, first 2 shown]
	v_fma_f64 v[185:186], v[142:143], s[10:11], v[68:69]
	v_fma_f64 v[68:69], v[142:143], s[44:45], v[68:69]
	v_add_f64_e32 v[199:200], v[34:35], v[54:55]
	v_add_f64_e32 v[154:155], v[34:35], v[154:155]
	;; [unrolled: 1-line block ×6, first 2 shown]
	v_fma_f64 v[40:41], v[142:143], s[30:31], v[70:71]
	v_fma_f64 v[42:43], v[142:143], s[40:41], v[70:71]
	;; [unrolled: 1-line block ×5, first 2 shown]
	v_fma_f64 v[160:161], v[138:139], s[20:21], -v[50:51]
	v_fma_f64 v[142:143], v[138:139], s[20:21], v[50:51]
	v_fma_f64 v[48:49], v[138:139], s[22:23], -v[48:49]
	v_fma_f64 v[195:196], v[138:139], s[34:35], v[150:151]
	v_fma_f64 v[138:139], v[138:139], s[34:35], -v[150:151]
	v_add_f64_e32 v[150:151], v[34:35], v[177:178]
	v_add_f64_e32 v[177:178], v[34:35], v[52:53]
	;; [unrolled: 1-line block ×12, first 2 shown]
	v_mul_f64_e32 v[160:161], s[20:21], v[122:123]
	v_add_f64_e32 v[44:45], v[32:33], v[48:49]
	v_mul_f64_e32 v[34:35], s[34:35], v[114:115]
	v_add_f64_e32 v[48:49], v[32:33], v[138:139]
	;; [unrolled: 2-line block ×3, first 2 shown]
	v_add_f64_e32 v[54:55], v[32:33], v[195:196]
	v_mul_f64_e32 v[32:33], s[38:39], v[96:97]
	v_add_f64_e32 v[30:31], v[38:39], v[30:31]
	v_add_f64_e32 v[28:29], v[36:37], v[28:29]
	v_mul_f64_e32 v[38:39], s[2:3], v[120:121]
	v_add_f64_e32 v[146:147], v[146:147], v[160:161]
	v_mul_f64_e32 v[160:161], s[12:13], v[128:129]
	;; [unrolled: 2-line block ×5, first 2 shown]
	v_add_f64_e32 v[26:27], v[30:31], v[26:27]
	v_add_f64_e32 v[24:25], v[28:29], v[24:25]
	v_mul_f64_e32 v[30:31], s[2:3], v[130:131]
	v_add_f64_e32 v[134:135], v[134:135], v[160:161]
	v_mul_f64_e32 v[160:161], s[34:35], v[82:83]
	;; [unrolled: 2-line block ×3, first 2 shown]
	v_add_f64_e64 v[158:159], v[162:163], -v[158:159]
	v_mul_f64_e32 v[162:163], s[20:21], v[106:107]
	v_add_f64_e32 v[22:23], v[26:27], v[22:23]
	v_add_f64_e32 v[20:21], v[24:25], v[20:21]
	v_fma_f64 v[24:25], v[90:91], s[52:53], v[30:31]
	v_mul_f64_e32 v[26:27], s[38:39], v[120:121]
	v_fma_f64 v[30:31], v[90:91], s[6:7], v[30:31]
	v_add_f64_e32 v[134:135], v[134:135], v[199:200]
	v_add_f64_e64 v[160:161], v[160:161], -v[164:165]
	v_mul_f64_e32 v[164:165], s[22:23], v[108:109]
	v_add_f64_e32 v[140:141], v[140:141], v[34:35]
	v_mul_f64_e32 v[34:35], s[38:39], v[80:81]
	v_add_f64_e64 v[144:145], v[162:163], -v[144:145]
	v_mul_f64_e32 v[162:163], s[12:13], v[98:99]
	v_add_f64_e32 v[18:19], v[22:23], v[18:19]
	v_add_f64_e32 v[16:17], v[20:21], v[16:17]
	v_mul_f64_e32 v[22:23], s[2:3], v[114:115]
	v_fma_f64 v[20:21], v[84:85], s[50:51], v[26:27]
	v_fma_f64 v[26:27], v[84:85], s[36:37], v[26:27]
	v_add_f64_e64 v[148:149], v[164:165], -v[148:149]
	v_mul_f64_e32 v[164:165], s[18:19], v[116:117]
	v_add_f64_e64 v[34:35], v[34:35], -v[166:167]
	v_add_f64_e32 v[134:135], v[140:141], v[134:135]
	v_add_f64_e64 v[132:133], v[162:163], -v[132:133]
	v_mul_f64_e32 v[140:141], s[30:31], v[102:103]
	v_add_f64_e32 v[14:15], v[18:19], v[14:15]
	v_add_f64_e32 v[12:13], v[16:17], v[12:13]
	v_mul_f64_e32 v[16:17], s[22:23], v[96:97]
	v_mul_f64_e32 v[18:19], s[46:47], v[88:89]
	v_add_f64_e64 v[136:137], v[164:165], -v[136:137]
	v_mul_f64_e32 v[164:165], s[22:23], v[128:129]
	v_add_f64_e32 v[134:135], v[146:147], v[134:135]
	v_add_f64_e32 v[132:133], v[132:133], v[201:202]
	s_delay_alu instid0(VALU_DEP_3) | instskip(SKIP_1) | instid1(VALU_DEP_3)
	v_fma_f64 v[162:163], v[100:101], s[16:17], v[164:165]
	v_fma_f64 v[164:165], v[100:101], s[46:47], v[164:165]
	v_add_f64_e32 v[132:133], v[136:137], v[132:133]
	v_add_f64_e32 v[134:135], v[156:157], v[134:135]
	s_delay_alu instid0(VALU_DEP_4)
	v_add_f64_e32 v[150:151], v[162:163], v[150:151]
	v_mul_f64_e32 v[162:163], s[46:47], v[124:125]
	v_add_f64_e32 v[164:165], v[164:165], v[177:178]
	v_fma_f64 v[177:178], v[98:99], s[2:3], v[175:176]
	v_fma_f64 v[175:176], v[98:99], s[2:3], -v[175:176]
	v_add_f64_e32 v[132:133], v[144:145], v[132:133]
	v_add_f64_e32 v[134:135], v[138:139], v[134:135]
	v_fma_f64 v[166:167], v[98:99], s[22:23], v[162:163]
	v_fma_f64 v[162:163], v[98:99], s[22:23], -v[162:163]
	v_add_f64_e32 v[177:178], v[177:178], v[183:184]
	v_mul_f64_e32 v[183:184], s[26:27], v[124:125]
	v_add_f64_e32 v[66:67], v[175:176], v[66:67]
	v_add_f64_e32 v[132:133], v[148:149], v[132:133]
	v_add_f64_e32 v[134:135], v[142:143], v[134:135]
	v_add_f64_e32 v[152:153], v[166:167], v[152:153]
	v_mul_f64_e32 v[166:167], s[38:39], v[128:129]
	v_add_f64_e32 v[162:163], v[162:163], v[197:198]
	v_fma_f64 v[175:176], v[98:99], s[28:29], v[183:184]
	v_add_f64_e32 v[132:133], v[158:159], v[132:133]
	s_delay_alu instid0(VALU_DEP_4) | instskip(SKIP_1) | instid1(VALU_DEP_4)
	v_fma_f64 v[168:169], v[100:101], s[36:37], v[166:167]
	v_fma_f64 v[166:167], v[100:101], s[50:51], v[166:167]
	v_add_f64_e32 v[175:176], v[175:176], v[187:188]
	s_delay_alu instid0(VALU_DEP_4) | instskip(NEXT) | instid1(VALU_DEP_4)
	v_add_f64_e32 v[132:133], v[160:161], v[132:133]
	v_add_f64_e32 v[154:155], v[168:169], v[154:155]
	v_fma_f64 v[168:169], v[100:101], s[6:7], v[170:171]
	v_fma_f64 v[170:171], v[100:101], s[52:53], v[170:171]
	v_add_f64_e32 v[166:167], v[166:167], v[203:204]
	s_delay_alu instid0(VALU_DEP_3) | instskip(SKIP_1) | instid1(VALU_DEP_4)
	v_add_f64_e32 v[168:169], v[168:169], v[179:180]
	v_mul_f64_e32 v[179:180], s[28:29], v[128:129]
	v_add_f64_e32 v[62:63], v[170:171], v[62:63]
	s_delay_alu instid0(VALU_DEP_2) | instskip(SKIP_1) | instid1(VALU_DEP_2)
	v_fma_f64 v[170:171], v[100:101], s[0:1], v[179:180]
	v_fma_f64 v[179:180], v[100:101], s[26:27], v[179:180]
	v_add_f64_e32 v[170:171], v[170:171], v[181:182]
	v_mul_f64_e32 v[181:182], s[50:51], v[124:125]
	s_delay_alu instid0(VALU_DEP_3) | instskip(SKIP_1) | instid1(VALU_DEP_3)
	v_add_f64_e32 v[64:65], v[179:180], v[64:65]
	v_mul_f64_e32 v[179:180], s[2:3], v[126:127]
	v_fma_f64 v[187:188], v[98:99], s[38:39], v[181:182]
	v_fma_f64 v[181:182], v[98:99], s[38:39], -v[181:182]
	s_delay_alu instid0(VALU_DEP_2) | instskip(NEXT) | instid1(VALU_DEP_4)
	v_add_f64_e32 v[68:69], v[187:188], v[68:69]
	v_fma_f64 v[187:188], v[94:95], s[52:53], v[179:180]
	s_delay_alu instid0(VALU_DEP_3) | instskip(SKIP_2) | instid1(VALU_DEP_4)
	v_add_f64_e32 v[70:71], v[181:182], v[70:71]
	v_mul_f64_e32 v[181:182], s[6:7], v[102:103]
	v_fma_f64 v[179:180], v[94:95], s[6:7], v[179:180]
	v_add_f64_e32 v[150:151], v[187:188], v[150:151]
	s_delay_alu instid0(VALU_DEP_3) | instskip(SKIP_1) | instid1(VALU_DEP_4)
	v_fma_f64 v[187:188], v[116:117], s[2:3], v[181:182]
	v_fma_f64 v[181:182], v[116:117], s[2:3], -v[181:182]
	v_add_f64_e32 v[164:165], v[179:180], v[164:165]
	v_mul_f64_e32 v[179:180], s[34:35], v[126:127]
	s_delay_alu instid0(VALU_DEP_4) | instskip(SKIP_2) | instid1(VALU_DEP_4)
	v_add_f64_e32 v[152:153], v[187:188], v[152:153]
	v_mul_f64_e32 v[187:188], s[22:23], v[126:127]
	v_add_f64_e32 v[162:163], v[181:182], v[162:163]
	v_fma_f64 v[136:137], v[94:95], s[40:41], v[179:180]
	v_fma_f64 v[179:180], v[94:95], s[30:31], v[179:180]
	s_delay_alu instid0(VALU_DEP_4) | instskip(SKIP_1) | instid1(VALU_DEP_4)
	v_fma_f64 v[181:182], v[94:95], s[46:47], v[187:188]
	v_fma_f64 v[187:188], v[94:95], s[16:17], v[187:188]
	v_add_f64_e32 v[136:137], v[136:137], v[168:169]
	v_mul_f64_e32 v[168:169], s[16:17], v[102:103]
	v_add_f64_e32 v[62:63], v[179:180], v[62:63]
	v_add_f64_e32 v[154:155], v[181:182], v[154:155]
	v_fma_f64 v[181:182], v[116:117], s[34:35], v[140:141]
	v_add_f64_e32 v[166:167], v[187:188], v[166:167]
	v_mul_f64_e32 v[187:188], s[38:39], v[126:127]
	v_fma_f64 v[140:141], v[116:117], s[34:35], -v[140:141]
	v_fma_f64 v[179:180], v[116:117], s[22:23], v[168:169]
	v_fma_f64 v[168:169], v[116:117], s[22:23], -v[168:169]
	v_add_f64_e32 v[177:178], v[181:182], v[177:178]
	v_fma_f64 v[181:182], v[94:95], s[36:37], v[187:188]
	v_add_f64_e32 v[66:67], v[140:141], v[66:67]
	v_mul_f64_e32 v[140:141], s[34:35], v[122:123]
	v_add_f64_e32 v[68:69], v[179:180], v[68:69]
	v_add_f64_e32 v[70:71], v[168:169], v[70:71]
	v_fma_f64 v[187:188], v[94:95], s[50:51], v[187:188]
	v_add_f64_e32 v[170:171], v[181:182], v[170:171]
	v_mul_f64_e32 v[181:182], s[30:31], v[118:119]
	v_fma_f64 v[179:180], v[104:105], s[40:41], v[140:141]
	v_fma_f64 v[140:141], v[104:105], s[30:31], v[140:141]
	v_add_f64_e32 v[64:65], v[187:188], v[64:65]
	v_mul_f64_e32 v[187:188], s[44:45], v[110:111]
	v_fma_f64 v[168:169], v[106:107], s[34:35], v[181:182]
	v_fma_f64 v[181:182], v[106:107], s[34:35], -v[181:182]
	v_add_f64_e32 v[150:151], v[179:180], v[150:151]
	v_mul_f64_e32 v[179:180], s[2:3], v[122:123]
	v_add_f64_e32 v[140:141], v[140:141], v[164:165]
	v_mul_f64_e32 v[164:165], s[44:45], v[118:119]
	;; [unrolled: 2-line block ×3, first 2 shown]
	v_add_f64_e32 v[162:163], v[181:182], v[162:163]
	v_fma_f64 v[181:182], v[104:105], s[52:53], v[179:180]
	v_fma_f64 v[179:180], v[104:105], s[6:7], v[179:180]
	;; [unrolled: 1-line block ×3, first 2 shown]
	v_fma_f64 v[164:165], v[106:107], s[12:13], -v[164:165]
	v_fma_f64 v[146:147], v[104:105], s[10:11], v[168:169]
	v_fma_f64 v[168:169], v[104:105], s[44:45], v[168:169]
	v_add_f64_e32 v[154:155], v[181:182], v[154:155]
	v_mul_f64_e32 v[181:182], s[6:7], v[118:119]
	v_add_f64_e32 v[166:167], v[179:180], v[166:167]
	v_mul_f64_e32 v[179:180], s[20:21], v[130:131]
	v_add_f64_e32 v[144:145], v[144:145], v[177:178]
	v_add_f64_e32 v[66:67], v[164:165], v[66:67]
	;; [unrolled: 1-line block ×3, first 2 shown]
	v_mul_f64_e32 v[146:147], s[42:43], v[110:111]
	v_add_f64_e32 v[62:63], v[168:169], v[62:63]
	v_fma_f64 v[177:178], v[106:107], s[2:3], v[181:182]
	v_fma_f64 v[181:182], v[106:107], s[2:3], -v[181:182]
	v_fma_f64 v[168:169], v[90:91], s[24:25], v[179:180]
	v_fma_f64 v[179:180], v[90:91], s[42:43], v[179:180]
	;; [unrolled: 1-line block ×3, first 2 shown]
	v_fma_f64 v[146:147], v[108:109], s[20:21], -v[146:147]
	v_add_f64_e32 v[68:69], v[177:178], v[68:69]
	v_mul_f64_e32 v[177:178], s[18:19], v[130:131]
	v_add_f64_e32 v[70:71], v[181:182], v[70:71]
	v_mul_f64_e32 v[181:182], s[28:29], v[130:131]
	;; [unrolled: 2-line block ×4, first 2 shown]
	v_add_f64_e32 v[152:153], v[164:165], v[152:153]
	v_add_f64_e32 v[146:147], v[146:147], v[162:163]
	v_mul_f64_e32 v[162:163], s[12:13], v[120:121]
	v_fma_f64 v[164:165], v[90:91], s[14:15], v[177:178]
	v_fma_f64 v[177:178], v[90:91], s[48:49], v[177:178]
	;; [unrolled: 1-line block ×5, first 2 shown]
	v_fma_f64 v[168:169], v[108:109], s[28:29], -v[168:169]
	v_add_f64_e32 v[154:155], v[164:165], v[154:155]
	v_mul_f64_e32 v[164:165], s[10:11], v[112:113]
	v_add_f64_e32 v[166:167], v[177:178], v[166:167]
	v_fma_f64 v[177:178], v[108:109], s[18:19], v[179:180]
	v_fma_f64 v[179:180], v[108:109], s[18:19], -v[179:180]
	v_add_f64_e32 v[136:137], v[156:157], v[136:137]
	v_mul_f64_e32 v[156:157], s[34:35], v[120:121]
	v_add_f64_e32 v[144:145], v[148:149], v[144:145]
	v_fma_f64 v[148:149], v[84:85], s[44:45], v[162:163]
	v_add_f64_e32 v[62:63], v[181:182], v[62:63]
	v_fma_f64 v[162:163], v[84:85], s[10:11], v[162:163]
	v_add_f64_e32 v[66:67], v[168:169], v[66:67]
	v_mul_f64_e32 v[168:169], s[18:19], v[120:121]
	v_fma_f64 v[181:182], v[86:87], s[12:13], v[164:165]
	v_fma_f64 v[164:165], v[86:87], s[12:13], -v[164:165]
	v_add_f64_e32 v[68:69], v[177:178], v[68:69]
	v_mul_f64_e32 v[177:178], s[48:49], v[112:113]
	v_add_f64_e32 v[70:71], v[179:180], v[70:71]
	v_mul_f64_e32 v[179:180], s[40:41], v[112:113]
	v_add_f64_e32 v[148:149], v[148:149], v[150:151]
	v_fma_f64 v[150:151], v[84:85], s[30:31], v[156:157]
	v_fma_f64 v[156:157], v[84:85], s[40:41], v[156:157]
	v_add_f64_e32 v[140:141], v[162:163], v[140:141]
	v_fma_f64 v[162:163], v[84:85], s[14:15], v[168:169]
	v_fma_f64 v[168:169], v[84:85], s[48:49], v[168:169]
	v_add_f64_e32 v[152:153], v[181:182], v[152:153]
	v_mul_f64_e32 v[181:182], s[38:39], v[114:115]
	v_add_f64_e32 v[146:147], v[164:165], v[146:147]
	v_mul_f64_e32 v[164:165], s[36:37], v[92:93]
	v_fma_f64 v[138:139], v[86:87], s[18:19], v[177:178]
	v_fma_f64 v[158:159], v[86:87], s[34:35], v[179:180]
	v_fma_f64 v[179:180], v[86:87], s[34:35], -v[179:180]
	v_fma_f64 v[177:178], v[86:87], s[18:19], -v[177:178]
	v_add_f64_e32 v[150:151], v[150:151], v[154:155]
	v_add_f64_e32 v[156:157], v[156:157], v[166:167]
	v_mul_f64_e32 v[166:167], s[28:29], v[114:115]
	v_add_f64_e32 v[136:137], v[162:163], v[136:137]
	v_add_f64_e32 v[62:63], v[168:169], v[62:63]
	v_mul_f64_e32 v[168:169], s[42:43], v[124:125]
	v_fma_f64 v[154:155], v[78:79], s[50:51], v[181:182]
	v_fma_f64 v[162:163], v[82:83], s[38:39], v[164:165]
	v_add_f64_e32 v[138:139], v[138:139], v[144:145]
	v_fma_f64 v[144:145], v[78:79], s[36:37], v[181:182]
	v_fma_f64 v[164:165], v[82:83], s[38:39], -v[164:165]
	v_mul_f64_e32 v[181:182], s[22:23], v[114:115]
	v_add_f64_e32 v[68:69], v[158:159], v[68:69]
	v_mul_f64_e32 v[158:159], s[16:17], v[92:93]
	v_add_f64_e32 v[70:71], v[179:180], v[70:71]
	;; [unrolled: 2-line block ×3, first 2 shown]
	v_fma_f64 v[177:178], v[98:99], s[20:21], v[168:169]
	v_fma_f64 v[168:169], v[98:99], s[20:21], -v[168:169]
	v_add_f64_e32 v[148:149], v[154:155], v[148:149]
	v_fma_f64 v[154:155], v[78:79], s[0:1], v[166:167]
	v_add_f64_e32 v[152:153], v[162:163], v[152:153]
	v_mul_f64_e32 v[162:163], s[26:27], v[92:93]
	v_fma_f64 v[166:167], v[78:79], s[26:27], v[166:167]
	v_add_f64_e32 v[140:141], v[144:145], v[140:141]
	v_add_f64_e32 v[144:145], v[164:165], v[146:147]
	v_fma_f64 v[146:147], v[78:79], s[46:47], v[181:182]
	v_fma_f64 v[142:143], v[82:83], s[22:23], v[158:159]
	v_mul_f64_e32 v[164:165], s[50:51], v[102:103]
	v_fma_f64 v[160:161], v[104:105], s[16:17], v[179:180]
	v_fma_f64 v[179:180], v[104:105], s[46:47], v[179:180]
	v_add_f64_e32 v[60:61], v[177:178], v[60:61]
	v_add_f64_e32 v[58:59], v[168:169], v[58:59]
	v_fma_f64 v[181:182], v[78:79], s[16:17], v[181:182]
	v_fma_f64 v[158:159], v[82:83], s[22:23], -v[158:159]
	v_add_f64_e32 v[150:151], v[154:155], v[150:151]
	v_mul_f64_e32 v[154:155], s[12:13], v[130:131]
	v_add_f64_e32 v[156:157], v[166:167], v[156:157]
	v_fma_f64 v[166:167], v[82:83], s[28:29], v[162:163]
	v_fma_f64 v[162:163], v[82:83], s[28:29], -v[162:163]
	v_add_f64_e32 v[136:137], v[146:147], v[136:137]
	v_mul_f64_e32 v[146:147], s[20:21], v[128:129]
	v_add_f64_e32 v[138:139], v[142:143], v[138:139]
	v_fma_f64 v[142:143], v[116:117], s[38:39], v[164:165]
	v_add_f64_e32 v[160:161], v[160:161], v[170:171]
	v_mul_f64_e32 v[170:171], s[46:47], v[118:119]
	v_fma_f64 v[164:165], v[116:117], s[38:39], -v[164:165]
	v_add_f64_e32 v[64:65], v[179:180], v[64:65]
	v_mul_f64_e32 v[179:180], s[14:15], v[124:125]
	v_mul_f64_e32 v[124:125], s[40:41], v[124:125]
	v_add_f64_e32 v[62:63], v[181:182], v[62:63]
	v_add_f64_e32 v[66:67], v[158:159], v[66:67]
	v_fma_f64 v[36:37], v[90:91], s[10:11], v[154:155]
	v_fma_f64 v[154:155], v[90:91], s[44:45], v[154:155]
	v_add_f64_e32 v[68:69], v[166:167], v[68:69]
	v_fma_f64 v[166:167], v[98:99], s[28:29], -v[183:184]
	v_add_f64_e32 v[70:71], v[162:163], v[70:71]
	v_fma_f64 v[162:163], v[100:101], s[24:25], v[146:147]
	v_mul_f64_e32 v[183:184], s[28:29], v[126:127]
	v_add_f64_e32 v[142:143], v[142:143], v[175:176]
	v_fma_f64 v[146:147], v[100:101], s[42:43], v[146:147]
	v_fma_f64 v[175:176], v[106:107], s[22:23], v[170:171]
	v_fma_f64 v[170:171], v[106:107], s[22:23], -v[170:171]
	v_fma_f64 v[177:178], v[98:99], s[18:19], -v[179:180]
	v_add_f64_e32 v[36:37], v[36:37], v[160:161]
	v_fma_f64 v[160:161], v[84:85], s[52:53], v[38:39]
	v_add_f64_e32 v[64:65], v[154:155], v[64:65]
	v_fma_f64 v[154:155], v[98:99], s[18:19], v[179:180]
	v_add_f64_e32 v[166:167], v[166:167], v[173:174]
	v_fma_f64 v[179:180], v[98:99], s[34:35], -v[124:125]
	v_add_f64_e32 v[162:163], v[162:163], v[185:186]
	v_fma_f64 v[173:174], v[94:95], s[26:27], v[183:184]
	v_mul_f64_e32 v[185:186], s[18:19], v[128:129]
	v_mul_f64_e32 v[128:129], s[34:35], v[128:129]
	v_add_f64_e32 v[142:143], v[175:176], v[142:143]
	v_fma_f64 v[175:176], v[108:109], s[12:13], v[187:188]
	v_fma_f64 v[98:99], v[98:99], s[34:35], v[124:125]
	v_add_f64_e32 v[56:57], v[146:147], v[56:57]
	v_mul_f64_e32 v[146:147], s[38:39], v[122:123]
	v_fma_f64 v[168:169], v[94:95], s[0:1], v[183:184]
	v_mul_f64_e32 v[183:184], s[50:51], v[118:119]
	v_add_f64_e32 v[48:49], v[177:178], v[48:49]
	v_mul_f64_e32 v[177:178], s[26:27], v[118:119]
	v_mul_f64_e32 v[118:119], s[14:15], v[118:119]
	v_fma_f64 v[38:39], v[84:85], s[6:7], v[38:39]
	v_add_f64_e32 v[36:37], v[160:161], v[36:37]
	v_mul_f64_e32 v[160:161], s[0:1], v[102:103]
	v_add_f64_e32 v[54:55], v[154:155], v[54:55]
	v_add_f64_e32 v[164:165], v[164:165], v[166:167]
	;; [unrolled: 1-line block ×4, first 2 shown]
	v_fma_f64 v[166:167], v[100:101], s[48:49], v[185:186]
	v_fma_f64 v[173:174], v[100:101], s[14:15], v[185:186]
	v_mul_f64_e32 v[185:186], s[20:21], v[126:127]
	v_add_f64_e32 v[142:143], v[175:176], v[142:143]
	v_fma_f64 v[175:176], v[100:101], s[40:41], v[128:129]
	v_mul_f64_e32 v[126:127], s[12:13], v[126:127]
	v_fma_f64 v[100:101], v[100:101], s[30:31], v[128:129]
	v_mul_f64_e32 v[128:129], s[42:43], v[102:103]
	v_mul_f64_e32 v[102:103], s[44:45], v[102:103]
	v_add_f64_e32 v[40:41], v[98:99], v[40:41]
	v_mul_f64_e32 v[98:99], s[34:35], v[130:131]
	v_add_f64_e32 v[56:57], v[168:169], v[56:57]
	v_fma_f64 v[168:169], v[106:107], s[38:39], -v[183:184]
	v_mul_f64_e32 v[130:131], s[38:39], v[130:131]
	v_add_f64_e32 v[38:39], v[38:39], v[64:65]
	v_fma_f64 v[124:125], v[116:117], s[28:29], v[160:161]
	v_fma_f64 v[160:161], v[116:117], s[28:29], -v[160:161]
	v_add_f64_e32 v[28:29], v[170:171], v[164:165]
	v_fma_f64 v[170:171], v[106:107], s[28:29], -v[177:178]
	v_fma_f64 v[177:178], v[106:107], s[28:29], v[177:178]
	v_add_f64_e32 v[50:51], v[166:167], v[50:51]
	v_add_f64_e32 v[52:53], v[173:174], v[52:53]
	v_fma_f64 v[166:167], v[94:95], s[42:43], v[185:186]
	v_mul_f64_e32 v[173:174], s[28:29], v[122:123]
	v_add_f64_e32 v[46:47], v[175:176], v[46:47]
	v_fma_f64 v[154:155], v[94:95], s[44:45], v[126:127]
	v_mul_f64_e32 v[122:123], s[18:19], v[122:123]
	v_fma_f64 v[175:176], v[94:95], s[24:25], v[185:186]
	v_fma_f64 v[185:186], v[116:117], s[20:21], -v[128:129]
	v_fma_f64 v[179:180], v[116:117], s[12:13], -v[102:103]
	v_fma_f64 v[94:95], v[94:95], s[10:11], v[126:127]
	v_fma_f64 v[126:127], v[116:117], s[20:21], v[128:129]
	v_add_f64_e32 v[42:43], v[100:101], v[42:43]
	v_fma_f64 v[102:103], v[116:117], s[12:13], v[102:103]
	v_fma_f64 v[128:129], v[104:105], s[36:37], v[146:147]
	v_fma_f64 v[116:117], v[106:107], s[38:39], v[183:184]
	v_fma_f64 v[146:147], v[104:105], s[50:51], v[146:147]
	v_mul_f64_e32 v[100:101], s[18:19], v[96:97]
	v_add_f64_e32 v[60:61], v[124:125], v[60:61]
	v_add_f64_e32 v[58:59], v[160:161], v[58:59]
	v_mul_f64_e32 v[160:161], s[30:31], v[110:111]
	v_mul_f64_e32 v[124:125], s[48:49], v[88:89]
	v_add_f64_e32 v[52:53], v[166:167], v[52:53]
	v_fma_f64 v[166:167], v[104:105], s[26:27], v[173:174]
	v_fma_f64 v[164:165], v[104:105], s[0:1], v[173:174]
	v_add_f64_e32 v[46:47], v[154:155], v[46:47]
	v_fma_f64 v[154:155], v[104:105], s[14:15], v[122:123]
	v_add_f64_e32 v[50:51], v[175:176], v[50:51]
	v_add_f64_e32 v[48:49], v[185:186], v[48:49]
	v_mul_f64_e32 v[173:174], s[36:37], v[110:111]
	v_add_f64_e32 v[44:45], v[179:180], v[44:45]
	v_fma_f64 v[175:176], v[106:107], s[18:19], -v[118:119]
	v_mul_f64_e32 v[110:111], s[52:53], v[110:111]
	v_add_f64_e32 v[54:55], v[126:127], v[54:55]
	v_fma_f64 v[104:105], v[104:105], s[48:49], v[122:123]
	v_add_f64_e32 v[42:43], v[94:95], v[42:43]
	v_fma_f64 v[106:107], v[106:107], s[18:19], v[118:119]
	v_add_f64_e32 v[40:41], v[102:103], v[40:41]
	v_add_f64_e32 v[126:127], v[128:129], v[162:163]
	;; [unrolled: 1-line block ×3, first 2 shown]
	v_fma_f64 v[146:147], v[90:91], s[40:41], v[98:99]
	v_fma_f64 v[98:99], v[90:91], s[30:31], v[98:99]
	v_fma_f64 v[179:180], v[108:109], s[12:13], -v[187:188]
	v_mul_f64_e32 v[102:103], s[42:43], v[88:89]
	v_mul_f64_e32 v[128:129], s[12:13], v[96:97]
	;; [unrolled: 1-line block ×4, first 2 shown]
	v_fma_f64 v[122:123], v[76:77], s[14:15], v[100:101]
	v_fma_f64 v[100:101], v[76:77], s[48:49], v[100:101]
	v_add_f64_e32 v[60:61], v[116:117], v[60:61]
	v_mul_f64_e32 v[116:117], s[6:7], v[112:113]
	v_add_f64_e32 v[58:59], v[168:169], v[58:59]
	v_fma_f64 v[168:169], v[108:109], s[34:35], v[160:161]
	v_fma_f64 v[160:161], v[108:109], s[34:35], -v[160:161]
	v_fma_f64 v[94:95], v[80:81], s[18:19], v[124:125]
	v_fma_f64 v[124:125], v[80:81], s[18:19], -v[124:125]
	v_add_f64_e32 v[52:53], v[166:167], v[52:53]
	v_mul_f64_e32 v[166:167], s[22:23], v[120:121]
	v_mul_f64_e32 v[120:121], s[20:21], v[120:121]
	v_add_f64_e32 v[46:47], v[154:155], v[46:47]
	v_fma_f64 v[154:155], v[90:91], s[36:37], v[130:131]
	v_add_f64_e32 v[50:51], v[164:165], v[50:51]
	v_mul_f64_e32 v[164:165], s[50:51], v[112:113]
	v_add_f64_e32 v[48:49], v[170:171], v[48:49]
	v_fma_f64 v[170:171], v[108:109], s[38:39], -v[173:174]
	v_add_f64_e32 v[44:45], v[175:176], v[44:45]
	v_fma_f64 v[175:176], v[108:109], s[2:3], -v[110:111]
	v_add_f64_e32 v[54:55], v[177:178], v[54:55]
	v_mul_f64_e32 v[177:178], s[42:43], v[112:113]
	v_mul_f64_e32 v[112:113], s[16:17], v[112:113]
	v_fma_f64 v[110:111], v[108:109], s[2:3], v[110:111]
	v_fma_f64 v[90:91], v[90:91], s[50:51], v[130:131]
	v_add_f64_e32 v[42:43], v[104:105], v[42:43]
	v_fma_f64 v[108:109], v[108:109], s[38:39], v[173:174]
	v_add_f64_e32 v[40:41], v[106:107], v[40:41]
	v_add_f64_e32 v[126:127], v[146:147], v[126:127]
	v_mul_f64_e32 v[146:147], s[24:25], v[92:93]
	v_mul_f64_e32 v[106:107], s[20:21], v[114:115]
	v_add_f64_e32 v[56:57], v[98:99], v[56:57]
	v_mul_f64_e32 v[98:99], s[18:19], v[114:115]
	v_add_f64_e32 v[28:29], v[179:180], v[28:29]
	v_fma_f64 v[179:180], v[80:81], s[20:21], v[102:103]
	v_fma_f64 v[173:174], v[76:77], s[24:25], v[118:119]
	;; [unrolled: 1-line block ×5, first 2 shown]
	v_fma_f64 v[162:163], v[80:81], s[12:13], -v[162:163]
	v_add_f64_e32 v[60:61], v[168:169], v[60:61]
	v_fma_f64 v[168:169], v[86:87], s[2:3], v[116:117]
	v_add_f64_e32 v[58:59], v[160:161], v[58:59]
	v_fma_f64 v[116:117], v[86:87], s[2:3], -v[116:117]
	v_add_f64_e32 v[24:25], v[24:25], v[52:53]
	v_mul_f64_e32 v[52:53], s[12:13], v[114:115]
	v_fma_f64 v[114:115], v[84:85], s[42:43], v[120:121]
	v_fma_f64 v[160:161], v[84:85], s[16:17], v[166:167]
	v_add_f64_e32 v[46:47], v[154:155], v[46:47]
	v_add_f64_e32 v[30:31], v[30:31], v[50:51]
	v_mul_f64_e32 v[50:51], s[6:7], v[92:93]
	v_mul_f64_e32 v[154:155], s[10:11], v[92:93]
	;; [unrolled: 1-line block ×3, first 2 shown]
	v_add_f64_e32 v[44:45], v[170:171], v[44:45]
	v_fma_f64 v[170:171], v[86:87], s[38:39], -v[164:165]
	v_add_f64_e32 v[48:49], v[175:176], v[48:49]
	v_fma_f64 v[175:176], v[86:87], s[20:21], -v[177:178]
	v_fma_f64 v[166:167], v[84:85], s[46:47], v[166:167]
	v_add_f64_e32 v[54:55], v[110:111], v[54:55]
	v_fma_f64 v[110:111], v[86:87], s[22:23], -v[112:113]
	v_fma_f64 v[112:113], v[86:87], s[22:23], v[112:113]
	v_fma_f64 v[164:165], v[86:87], s[38:39], v[164:165]
	;; [unrolled: 1-line block ×3, first 2 shown]
	v_add_f64_e32 v[42:43], v[90:91], v[42:43]
	v_fma_f64 v[86:87], v[86:87], s[20:21], v[177:178]
	v_add_f64_e32 v[40:41], v[108:109], v[40:41]
	v_fma_f64 v[108:109], v[82:83], s[20:21], v[146:147]
	v_mul_f64_e32 v[120:121], s[34:35], v[96:97]
	v_mul_f64_e32 v[177:178], s[30:31], v[88:89]
	v_fma_f64 v[64:65], v[82:83], s[20:21], -v[146:147]
	v_mul_f64_e32 v[146:147], s[2:3], v[96:97]
	v_mul_f64_e32 v[96:97], s[28:29], v[96:97]
	v_fma_f64 v[90:91], v[78:79], s[42:43], v[106:107]
	v_fma_f64 v[106:107], v[78:79], s[24:25], v[106:107]
	v_add_f64_e32 v[142:143], v[168:169], v[142:143]
	v_mul_f64_e32 v[168:169], s[6:7], v[88:89]
	v_mul_f64_e32 v[88:89], s[26:27], v[88:89]
	v_add_f64_e32 v[28:29], v[116:117], v[28:29]
	v_add_f64_e32 v[20:21], v[20:21], v[24:25]
	v_fma_f64 v[24:25], v[78:79], s[10:11], v[52:53]
	v_fma_f64 v[52:53], v[78:79], s[44:45], v[52:53]
	v_add_f64_e32 v[56:57], v[160:161], v[56:57]
	v_add_f64_e32 v[46:47], v[114:115], v[46:47]
	v_fma_f64 v[114:115], v[78:79], s[6:7], v[22:23]
	v_fma_f64 v[160:161], v[78:79], s[14:15], v[98:99]
	;; [unrolled: 1-line block ×3, first 2 shown]
	v_add_f64_e32 v[26:27], v[26:27], v[30:31]
	v_fma_f64 v[30:31], v[82:83], s[12:13], v[154:155]
	v_fma_f64 v[22:23], v[78:79], s[52:53], v[22:23]
	v_add_f64_e32 v[48:49], v[170:171], v[48:49]
	v_add_f64_e32 v[44:45], v[175:176], v[44:45]
	v_fma_f64 v[170:171], v[82:83], s[2:3], -v[50:51]
	v_fma_f64 v[175:176], v[82:83], s[12:13], -v[154:155]
	v_add_f64_e32 v[58:59], v[110:111], v[58:59]
	v_fma_f64 v[110:111], v[82:83], s[18:19], -v[92:93]
	v_add_f64_e32 v[116:117], v[166:167], v[126:127]
	v_fma_f64 v[92:93], v[82:83], s[18:19], v[92:93]
	v_add_f64_e32 v[60:61], v[112:113], v[60:61]
	v_add_f64_e32 v[54:55], v[164:165], v[54:55]
	v_add_f64_e32 v[42:43], v[84:85], v[42:43]
	v_fma_f64 v[50:51], v[82:83], s[2:3], v[50:51]
	v_add_f64_e32 v[40:41], v[86:87], v[40:41]
	v_fma_f64 v[82:83], v[80:81], s[20:21], -v[102:103]
	v_add_f64_e32 v[154:155], v[12:13], v[8:9]
	v_fma_f64 v[78:79], v[76:77], s[42:43], v[118:119]
	v_fma_f64 v[126:127], v[76:77], s[26:27], v[96:97]
	;; [unrolled: 1-line block ×3, first 2 shown]
	v_add_f64_e32 v[86:87], v[90:91], v[36:37]
	v_fma_f64 v[36:37], v[76:77], s[30:31], v[120:121]
	v_fma_f64 v[118:119], v[76:77], s[46:47], v[16:17]
	v_fma_f64 v[120:121], v[80:81], s[22:23], -v[18:19]
	v_add_f64_e32 v[102:103], v[108:109], v[142:143]
	v_add_f64_e32 v[142:143], v[14:15], v[10:11]
	;; [unrolled: 1-line block ×3, first 2 shown]
	v_fma_f64 v[108:109], v[76:77], s[6:7], v[146:147]
	v_fma_f64 v[112:113], v[80:81], s[2:3], -v[168:169]
	v_fma_f64 v[106:107], v[80:81], s[34:35], -v[177:178]
	v_add_f64_e32 v[24:25], v[24:25], v[20:21]
	v_add_f64_e32 v[28:29], v[64:65], v[28:29]
	v_fma_f64 v[90:91], v[80:81], s[34:35], v[177:178]
	v_fma_f64 v[64:65], v[76:77], s[52:53], v[146:147]
	v_add_f64_e32 v[46:47], v[114:115], v[46:47]
	v_fma_f64 v[114:115], v[80:81], s[28:29], -v[88:89]
	v_add_f64_e32 v[56:57], v[160:161], v[56:57]
	v_fma_f64 v[146:147], v[80:81], s[22:23], v[18:19]
	v_add_f64_e32 v[18:19], v[32:33], v[134:135]
	v_add_f64_e32 v[14:15], v[100:101], v[140:141]
	;; [unrolled: 1-line block ×9, first 2 shown]
	v_fma_f64 v[110:111], v[80:81], s[2:3], v[168:169]
	v_add_f64_e32 v[60:61], v[92:93], v[60:61]
	v_fma_f64 v[92:93], v[76:77], s[16:17], v[16:17]
	v_add_f64_e32 v[116:117], v[52:53], v[26:27]
	v_add_f64_e32 v[158:159], v[30:31], v[54:55]
	v_fma_f64 v[76:77], v[76:77], s[0:1], v[96:97]
	v_add_f64_e32 v[96:97], v[22:23], v[42:43]
	v_fma_f64 v[80:81], v[80:81], s[28:29], v[88:89]
	v_add_f64_e32 v[88:89], v[50:51], v[40:41]
	v_add_f64_e32 v[4:5], v[154:155], v[4:5]
	;; [unrolled: 1-line block ×11, first 2 shown]
	v_lshl_add_u32 v68, v72, 8, v172
	v_add_f64_e32 v[42:43], v[118:119], v[24:25]
	v_add_f64_e32 v[32:33], v[106:107], v[28:29]
	;; [unrolled: 1-line block ×17, first 2 shown]
	ds_store_b128 v68, v[4:7]
	ds_store_b128 v68, v[44:47] offset:16
	ds_store_b128 v68, v[40:43] offset:32
	;; [unrolled: 1-line block ×16, first 2 shown]
.LBB0_19:
	s_or_b32 exec_lo, exec_lo, s33
	v_and_b32_e32 v4, 0xff, v72
	global_wb scope:SCOPE_SE
	s_wait_dscnt 0x0
	s_barrier_signal -1
	s_barrier_wait -1
	global_inv scope:SCOPE_SE
	v_mul_lo_u16 v4, 0xf1, v4
	s_mov_b32 s2, 0x134454ff
	s_mov_b32 s3, 0x3fee6f0e
	;; [unrolled: 1-line block ×3, first 2 shown]
	s_wait_alu 0xfffe
	s_mov_b32 s0, s2
	v_lshrrev_b16 v44, 12, v4
	s_mov_b32 s10, 0x4755a5e
	s_mov_b32 s11, 0x3fe2cf23
	;; [unrolled: 1-line block ×3, first 2 shown]
	s_wait_alu 0xfffe
	s_mov_b32 s6, s10
	v_mul_lo_u16 v4, v44, 17
	s_mov_b32 s12, 0x372fe950
	s_mov_b32 s13, 0x3fd3c6ef
	;; [unrolled: 1-line block ×4, first 2 shown]
	v_sub_nc_u16 v4, v72, v4
	v_and_b32_e32 v44, 0xffff, v44
	s_delay_alu instid0(VALU_DEP_2) | instskip(NEXT) | instid1(VALU_DEP_2)
	v_and_b32_e32 v45, 0xff, v4
	v_mul_u32_u24_e32 v44, 0xaa0, v44
	s_delay_alu instid0(VALU_DEP_2) | instskip(SKIP_1) | instid1(VALU_DEP_2)
	v_mul_u32_u24_e32 v4, 9, v45
	v_lshlrev_b32_e32 v45, 4, v45
	v_lshlrev_b32_e32 v36, 4, v4
	s_delay_alu instid0(VALU_DEP_2)
	v_add3_u32 v44, 0, v44, v45
	s_clause 0x8
	global_load_b128 v[4:7], v36, s[4:5] offset:32
	global_load_b128 v[8:11], v36, s[4:5] offset:64
	;; [unrolled: 1-line block ×4, first 2 shown]
	global_load_b128 v[20:23], v36, s[4:5]
	global_load_b128 v[24:27], v36, s[4:5] offset:16
	global_load_b128 v[28:31], v36, s[4:5] offset:48
	;; [unrolled: 1-line block ×4, first 2 shown]
	ds_load_b128 v[40:43], v172 offset:8976
	ds_load_b128 v[46:49], v172 offset:14960
	;; [unrolled: 1-line block ×6, first 2 shown]
	s_wait_loadcnt_dscnt 0x805
	v_mul_f64_e32 v[66:67], v[42:43], v[6:7]
	v_mul_f64_e32 v[6:7], v[40:41], v[6:7]
	s_wait_loadcnt_dscnt 0x704
	v_mul_f64_e32 v[68:69], v[48:49], v[10:11]
	v_mul_f64_e32 v[10:11], v[46:47], v[10:11]
	s_wait_loadcnt_dscnt 0x603
	v_mul_f64_e32 v[70:71], v[50:51], v[14:15]
	s_wait_loadcnt_dscnt 0x502
	v_mul_f64_e32 v[76:77], v[54:55], v[18:19]
	v_mul_f64_e32 v[18:19], v[56:57], v[18:19]
	;; [unrolled: 1-line block ×3, first 2 shown]
	s_wait_loadcnt_dscnt 0x401
	v_mul_f64_e32 v[78:79], v[60:61], v[22:23]
	v_mul_f64_e32 v[22:23], v[58:59], v[22:23]
	v_fma_f64 v[40:41], v[40:41], v[4:5], -v[66:67]
	v_fma_f64 v[42:43], v[42:43], v[4:5], v[6:7]
	v_fma_f64 v[46:47], v[46:47], v[8:9], -v[68:69]
	v_fma_f64 v[48:49], v[48:49], v[8:9], v[10:11]
	v_fma_f64 v[52:53], v[52:53], v[12:13], v[70:71]
	v_fma_f64 v[56:57], v[56:57], v[16:17], v[76:77]
	v_fma_f64 v[16:17], v[54:55], v[16:17], -v[18:19]
	v_fma_f64 v[18:19], v[50:51], v[12:13], -v[14:15]
	ds_load_b128 v[4:7], v172 offset:11968
	ds_load_b128 v[8:11], v172 offset:17952
	;; [unrolled: 1-line block ×3, first 2 shown]
	s_wait_loadcnt_dscnt 0x303
	v_mul_f64_e32 v[50:51], v[64:65], v[26:27]
	v_mul_f64_e32 v[26:27], v[62:63], v[26:27]
	v_fma_f64 v[58:59], v[58:59], v[20:21], -v[78:79]
	v_fma_f64 v[20:21], v[60:61], v[20:21], v[22:23]
	s_wait_loadcnt_dscnt 0x202
	v_mul_f64_e32 v[54:55], v[6:7], v[30:31]
	v_mul_f64_e32 v[30:31], v[4:5], v[30:31]
	s_wait_loadcnt_dscnt 0x101
	v_mul_f64_e32 v[66:67], v[10:11], v[34:35]
	s_wait_loadcnt_dscnt 0x0
	v_mul_f64_e32 v[68:69], v[14:15], v[38:39]
	v_mul_f64_e32 v[34:35], v[8:9], v[34:35]
	;; [unrolled: 1-line block ×3, first 2 shown]
	v_add_f64_e64 v[78:79], v[46:47], -v[40:41]
	v_add_f64_e64 v[82:83], v[42:43], -v[48:49]
	v_add_f64_e32 v[22:23], v[48:49], v[52:53]
	v_add_f64_e32 v[60:61], v[42:43], v[56:57]
	;; [unrolled: 1-line block ×4, first 2 shown]
	v_add_f64_e64 v[80:81], v[18:19], -v[16:17]
	v_fma_f64 v[50:51], v[62:63], v[24:25], -v[50:51]
	v_fma_f64 v[24:25], v[64:65], v[24:25], v[26:27]
	v_add_f64_e64 v[84:85], v[56:57], -v[52:53]
	v_add_f64_e64 v[86:87], v[48:49], -v[42:43]
	;; [unrolled: 1-line block ×3, first 2 shown]
	v_fma_f64 v[26:27], v[4:5], v[28:29], -v[54:55]
	v_fma_f64 v[28:29], v[6:7], v[28:29], v[30:31]
	v_fma_f64 v[8:9], v[8:9], v[32:33], -v[66:67]
	v_fma_f64 v[12:13], v[12:13], v[36:37], -v[68:69]
	v_fma_f64 v[10:11], v[10:11], v[32:33], v[34:35]
	v_fma_f64 v[14:15], v[14:15], v[36:37], v[38:39]
	v_add_f64_e64 v[30:31], v[42:43], -v[56:57]
	v_add_f64_e64 v[32:33], v[48:49], -v[52:53]
	v_add_f64_e64 v[34:35], v[40:41], -v[16:17]
	v_add_f64_e64 v[36:37], v[46:47], -v[18:19]
	ds_load_b128 v[4:7], v172
	global_wb scope:SCOPE_SE
	s_wait_dscnt 0x0
	s_barrier_signal -1
	s_barrier_wait -1
	global_inv scope:SCOPE_SE
	v_fma_f64 v[22:23], v[22:23], -0.5, v[20:21]
	v_fma_f64 v[38:39], v[60:61], -0.5, v[20:21]
	;; [unrolled: 1-line block ×4, first 2 shown]
	v_add_f64_e64 v[70:71], v[40:41], -v[46:47]
	v_add_f64_e64 v[76:77], v[16:17], -v[18:19]
	v_add_f64_e32 v[40:41], v[58:59], v[40:41]
	v_add_f64_e32 v[20:21], v[20:21], v[42:43]
	;; [unrolled: 1-line block ×8, first 2 shown]
	v_add_f64_e64 v[100:101], v[24:25], -v[14:15]
	v_add_f64_e64 v[102:103], v[28:29], -v[10:11]
	;; [unrolled: 1-line block ×4, first 2 shown]
	v_fma_f64 v[90:91], v[34:35], s[0:1], v[22:23]
	v_fma_f64 v[92:93], v[36:37], s[2:3], v[38:39]
	;; [unrolled: 1-line block ×8, first 2 shown]
	v_add_f64_e32 v[40:41], v[40:41], v[46:47]
	v_add_f64_e32 v[20:21], v[20:21], v[48:49]
	v_fma_f64 v[42:43], v[62:63], -0.5, v[4:5]
	v_fma_f64 v[4:5], v[64:65], -0.5, v[4:5]
	v_fma_f64 v[58:59], v[66:67], -0.5, v[6:7]
	v_fma_f64 v[6:7], v[68:69], -0.5, v[6:7]
	v_add_f64_e32 v[62:63], v[70:71], v[76:77]
	v_add_f64_e32 v[64:65], v[78:79], v[80:81]
	;; [unrolled: 1-line block ×4, first 2 shown]
	v_add_f64_e64 v[82:83], v[14:15], -v[10:11]
	v_add_f64_e64 v[84:85], v[10:11], -v[14:15]
	s_wait_alu 0xfffe
	v_fma_f64 v[70:71], v[36:37], s[6:7], v[90:91]
	v_fma_f64 v[76:77], v[34:35], s[6:7], v[92:93]
	;; [unrolled: 1-line block ×8, first 2 shown]
	v_add_f64_e64 v[36:37], v[50:51], -v[26:27]
	v_add_f64_e64 v[38:39], v[12:13], -v[8:9]
	;; [unrolled: 1-line block ×6, first 2 shown]
	v_add_f64_e32 v[26:27], v[98:99], v[26:27]
	v_add_f64_e32 v[28:29], v[104:105], v[28:29]
	;; [unrolled: 1-line block ×4, first 2 shown]
	v_fma_f64 v[46:47], v[100:101], s[2:3], v[42:43]
	v_fma_f64 v[42:43], v[100:101], s[0:1], v[42:43]
	;; [unrolled: 1-line block ×16, first 2 shown]
	v_add_f64_e32 v[36:37], v[36:37], v[38:39]
	v_add_f64_e32 v[38:39], v[50:51], v[54:55]
	v_add_f64_e32 v[50:51], v[60:61], v[82:83]
	v_add_f64_e32 v[24:25], v[24:25], v[84:85]
	v_add_f64_e32 v[8:9], v[26:27], v[8:9]
	v_add_f64_e32 v[10:11], v[28:29], v[10:11]
	v_fma_f64 v[26:27], v[102:103], s[10:11], v[46:47]
	v_fma_f64 v[28:29], v[102:103], s[6:7], v[42:43]
	;; [unrolled: 1-line block ×8, first 2 shown]
	v_mul_f64_e32 v[52:53], s[10:11], v[70:71]
	v_mul_f64_e32 v[54:55], s[2:3], v[76:77]
	;; [unrolled: 1-line block ×8, first 2 shown]
	v_add_f64_e32 v[8:9], v[8:9], v[12:13]
	v_add_f64_e32 v[10:11], v[10:11], v[14:15]
	;; [unrolled: 1-line block ×4, first 2 shown]
	v_fma_f64 v[26:27], v[36:37], s[12:13], v[26:27]
	v_fma_f64 v[36:37], v[36:37], s[12:13], v[28:29]
	;; [unrolled: 1-line block ×10, first 2 shown]
	v_fma_f64 v[32:33], v[34:35], s[2:3], -v[58:59]
	v_fma_f64 v[34:35], v[22:23], s[10:11], -v[60:61]
	v_fma_f64 v[52:53], v[70:71], s[14:15], v[62:63]
	v_fma_f64 v[54:55], v[76:77], s[12:13], v[64:65]
	v_fma_f64 v[58:59], v[78:79], s[0:1], -v[66:67]
	v_fma_f64 v[60:61], v[80:81], s[6:7], -v[68:69]
	v_cmp_gt_u32_e64 s0, 0xaa, v72
	v_add_f64_e32 v[4:5], v[8:9], v[12:13]
	v_add_f64_e32 v[6:7], v[10:11], v[14:15]
	v_add_f64_e64 v[12:13], v[8:9], -v[12:13]
	v_add_f64_e64 v[14:15], v[10:11], -v[14:15]
	v_add_f64_e32 v[40:41], v[26:27], v[24:25]
	v_add_f64_e32 v[16:17], v[28:29], v[30:31]
	;; [unrolled: 1-line block ×8, first 2 shown]
	v_add_f64_e64 v[24:25], v[26:27], -v[24:25]
	v_add_f64_e64 v[28:29], v[28:29], -v[30:31]
	;; [unrolled: 1-line block ×8, first 2 shown]
	ds_store_b128 v44, v[4:7]
	ds_store_b128 v44, v[40:43] offset:272
	ds_store_b128 v44, v[16:19] offset:544
	;; [unrolled: 1-line block ×9, first 2 shown]
	global_wb scope:SCOPE_SE
	s_wait_dscnt 0x0
	s_barrier_signal -1
	s_barrier_wait -1
	global_inv scope:SCOPE_SE
	s_and_saveexec_b32 s1, s0
	s_cbranch_execz .LBB0_21
; %bb.20:
	ds_load_b128 v[4:7], v172
	ds_load_b128 v[40:43], v172 offset:2720
	ds_load_b128 v[16:19], v172 offset:5440
	;; [unrolled: 1-line block ×10, first 2 shown]
.LBB0_21:
	s_wait_alu 0xfffe
	s_or_b32 exec_lo, exec_lo, s1
	global_wb scope:SCOPE_SE
	s_wait_dscnt 0x0
	s_barrier_signal -1
	s_barrier_wait -1
	global_inv scope:SCOPE_SE
	s_and_saveexec_b32 s33, s0
	s_cbranch_execz .LBB0_23
; %bb.22:
	v_dual_mov_b32 v45, 0 :: v_dual_add_nc_u32 v44, 0xffffff56, v72
	s_mov_b32 s22, 0x640f44db
	s_mov_b32 s2, 0x8eee2c13
	;; [unrolled: 1-line block ×3, first 2 shown]
	s_delay_alu instid0(VALU_DEP_1)
	v_cndmask_b32_e64 v44, v44, v72, s0
	s_mov_b32 s10, 0xbb3a28a1
	s_mov_b32 s12, 0x9bcd5057
	;; [unrolled: 1-line block ×4, first 2 shown]
	v_mul_i32_i24_e32 v44, 10, v44
	s_mov_b32 s26, 0x43842ef
	s_mov_b32 s3, 0xbfed1bb4
	;; [unrolled: 1-line block ×4, first 2 shown]
	v_lshlrev_b64_e32 v[44:45], 4, v[44:45]
	s_mov_b32 s13, 0xbfeeb42a
	s_mov_b32 s17, 0x3fd207e7
	;; [unrolled: 1-line block ×4, first 2 shown]
	s_wait_alu 0xfffe
	s_mov_b32 s24, s10
	v_add_co_u32 v84, s0, s4, v44
	s_wait_alu 0xf1ff
	v_add_co_ci_u32_e64 v85, s0, s5, v45, s0
	s_mov_b32 s0, 0xd9c712b6
	s_mov_b32 s1, 0x3fda9628
	s_mov_b32 s18, s16
	s_clause 0x9
	global_load_b128 v[68:71], v[84:85], off offset:2448
	global_load_b128 v[64:67], v[84:85], off offset:2512
	;; [unrolled: 1-line block ×10, first 2 shown]
	s_mov_b32 s27, 0x3fefac9e
	s_mov_b32 s31, 0xbfefac9e
	;; [unrolled: 1-line block ×8, first 2 shown]
	s_wait_alu 0xfffe
	s_mov_b32 s20, s14
	s_mov_b32 s29, 0x3fed1bb4
	;; [unrolled: 1-line block ×3, first 2 shown]
	s_wait_loadcnt 0x9
	v_mul_f64_e32 v[88:89], v[40:41], v[70:71]
	v_mul_f64_e32 v[70:71], v[42:43], v[70:71]
	s_wait_loadcnt 0x8
	v_mul_f64_e32 v[90:91], v[12:13], v[66:67]
	s_wait_loadcnt 0x6
	;; [unrolled: 2-line block ×7, first 2 shown]
	v_mul_f64_e32 v[104:105], v[36:37], v[82:83]
	v_mul_f64_e32 v[78:79], v[18:19], v[78:79]
	s_wait_loadcnt 0x0
	v_mul_f64_e32 v[106:107], v[0:1], v[86:87]
	v_mul_f64_e32 v[66:67], v[14:15], v[66:67]
	;; [unrolled: 1-line block ×8, first 2 shown]
	v_fma_f64 v[88:89], v[42:43], v[68:69], v[88:89]
	v_fma_f64 v[68:69], v[40:41], v[68:69], -v[70:71]
	v_mul_f64_e32 v[70:71], v[38:39], v[82:83]
	v_fma_f64 v[40:41], v[14:15], v[64:65], v[90:91]
	v_fma_f64 v[42:43], v[22:23], v[44:45], v[94:95]
	;; [unrolled: 1-line block ×7, first 2 shown]
	v_fma_f64 v[16:17], v[16:17], v[76:77], -v[78:79]
	v_mul_f64_e32 v[82:83], v[2:3], v[86:87]
	v_fma_f64 v[2:3], v[2:3], v[84:85], v[106:107]
	v_fma_f64 v[28:29], v[28:29], v[56:57], -v[58:59]
	v_fma_f64 v[8:9], v[8:9], v[48:49], -v[50:51]
	;; [unrolled: 1-line block ×5, first 2 shown]
	v_fma_f64 v[26:27], v[26:27], v[60:61], v[92:93]
	v_fma_f64 v[24:25], v[24:25], v[60:61], -v[62:63]
	v_add_f64_e32 v[34:35], v[6:7], v[88:89]
	v_add_f64_e32 v[38:39], v[4:5], v[68:69]
	v_fma_f64 v[36:37], v[36:37], v[80:81], -v[70:71]
	v_add_f64_e64 v[62:63], v[42:43], -v[22:23]
	v_add_f64_e32 v[46:47], v[42:43], v[22:23]
	v_add_f64_e32 v[48:49], v[30:31], v[14:15]
	v_add_f64_e64 v[54:55], v[30:31], -v[14:15]
	v_add_f64_e32 v[50:51], v[18:19], v[10:11]
	v_add_f64_e64 v[56:57], v[18:19], -v[10:11]
	v_fma_f64 v[0:1], v[0:1], v[84:85], -v[82:83]
	v_add_f64_e32 v[52:53], v[88:89], v[2:3]
	v_add_f64_e64 v[58:59], v[88:89], -v[2:3]
	v_add_f64_e64 v[66:67], v[8:9], -v[32:33]
	v_add_f64_e32 v[82:83], v[8:9], v[32:33]
	v_add_f64_e64 v[64:65], v[20:21], -v[28:29]
	v_add_f64_e32 v[44:45], v[40:41], v[26:27]
	;; [unrolled: 2-line block ×3, first 2 shown]
	v_add_f64_e32 v[80:81], v[20:21], v[28:29]
	v_add_f64_e32 v[18:19], v[34:35], v[18:19]
	;; [unrolled: 1-line block ×3, first 2 shown]
	v_add_f64_e64 v[70:71], v[16:17], -v[36:37]
	v_add_f64_e32 v[16:17], v[16:17], v[36:37]
	v_add_f64_e64 v[38:39], v[12:13], -v[24:25]
	s_wait_alu 0xfffe
	v_mul_f64_e32 v[102:103], s[28:29], v[62:63]
	v_mul_f64_e32 v[114:115], s[18:19], v[62:63]
	;; [unrolled: 1-line block ×6, first 2 shown]
	v_add_f64_e64 v[76:77], v[68:69], -v[0:1]
	v_add_f64_e32 v[68:69], v[68:69], v[0:1]
	v_mul_f64_e32 v[92:93], s[12:13], v[52:53]
	v_mul_f64_e32 v[98:99], s[18:19], v[58:59]
	;; [unrolled: 1-line block ×25, first 2 shown]
	v_add_f64_e32 v[18:19], v[18:19], v[30:31]
	v_add_f64_e32 v[8:9], v[34:35], v[8:9]
	v_mul_f64_e32 v[34:35], s[6:7], v[52:53]
	v_mul_f64_e32 v[52:53], s[4:5], v[52:53]
	;; [unrolled: 1-line block ×8, first 2 shown]
	v_fma_f64 v[164:165], v[16:17], s[4:5], v[96:97]
	v_fma_f64 v[96:97], v[16:17], s[4:5], -v[96:97]
	v_mul_f64_e32 v[104:105], s[0:1], v[44:45]
	v_fma_f64 v[160:161], v[76:77], s[16:17], v[92:93]
	v_fma_f64 v[166:167], v[68:69], s[12:13], v[98:99]
	;; [unrolled: 1-line block ×3, first 2 shown]
	v_fma_f64 v[98:99], v[68:69], s[12:13], -v[98:99]
	v_fma_f64 v[170:171], v[68:69], s[6:7], v[110:111]
	v_fma_f64 v[110:111], v[68:69], s[6:7], -v[110:111]
	v_fma_f64 v[173:174], v[76:77], s[26:27], v[116:117]
	v_fma_f64 v[116:117], v[76:77], s[30:31], v[116:117]
	;; [unrolled: 1-line block ×3, first 2 shown]
	v_fma_f64 v[177:178], v[68:69], s[0:1], -v[122:123]
	v_fma_f64 v[179:180], v[68:69], s[22:23], -v[124:125]
	v_fma_f64 v[124:125], v[68:69], s[22:23], v[124:125]
	v_fma_f64 v[120:121], v[76:77], s[28:29], v[120:121]
	;; [unrolled: 1-line block ×4, first 2 shown]
	v_fma_f64 v[126:127], v[16:17], s[22:23], -v[126:127]
	v_fma_f64 v[185:186], v[70:71], s[18:19], v[130:131]
	v_fma_f64 v[187:188], v[16:17], s[12:13], v[134:135]
	v_fma_f64 v[130:131], v[70:71], s[16:17], v[130:131]
	v_fma_f64 v[191:192], v[16:17], s[0:1], v[56:57]
	v_fma_f64 v[193:194], v[66:67], s[2:3], v[128:129]
	v_fma_f64 v[195:196], v[82:83], s[0:1], v[132:133]
	v_fma_f64 v[128:129], v[66:67], s[28:29], v[128:129]
	v_fma_f64 v[132:133], v[82:83], s[0:1], -v[132:133]
	v_fma_f64 v[162:163], v[82:83], s[6:7], v[94:95]
	v_add_f64_e32 v[18:19], v[18:19], v[42:43]
	v_add_f64_e32 v[8:9], v[8:9], v[20:21]
	v_fma_f64 v[168:169], v[76:77], s[10:11], v[34:35]
	v_fma_f64 v[34:35], v[76:77], s[24:25], v[34:35]
	;; [unrolled: 1-line block ×4, first 2 shown]
	v_fma_f64 v[76:77], v[68:69], s[4:5], -v[58:59]
	v_fma_f64 v[58:59], v[68:69], s[4:5], v[58:59]
	v_mul_f64_e32 v[20:21], s[24:25], v[62:63]
	v_fma_f64 v[62:63], v[70:71], s[14:15], v[90:91]
	v_fma_f64 v[90:91], v[70:71], s[20:21], v[90:91]
	;; [unrolled: 1-line block ×4, first 2 shown]
	v_add_f64_e32 v[160:161], v[6:7], v[160:161]
	v_add_f64_e32 v[166:167], v[4:5], v[166:167]
	;; [unrolled: 1-line block ×14, first 2 shown]
	v_fma_f64 v[189:190], v[70:71], s[28:29], v[50:51]
	v_fma_f64 v[50:51], v[70:71], s[2:3], v[50:51]
	;; [unrolled: 1-line block ×4, first 2 shown]
	v_fma_f64 v[94:95], v[82:83], s[6:7], -v[94:95]
	v_mul_f64_e32 v[112:113], s[28:29], v[60:61]
	v_mul_f64_e32 v[152:153], s[4:5], v[44:45]
	;; [unrolled: 1-line block ×6, first 2 shown]
	v_add_f64_e32 v[18:19], v[18:19], v[40:41]
	v_add_f64_e32 v[8:9], v[8:9], v[12:13]
	v_fma_f64 v[12:13], v[16:17], s[12:13], -v[134:135]
	v_fma_f64 v[40:41], v[70:71], s[10:11], v[138:139]
	v_fma_f64 v[134:135], v[16:17], s[6:7], v[142:143]
	;; [unrolled: 1-line block ×3, first 2 shown]
	v_fma_f64 v[142:143], v[16:17], s[6:7], -v[142:143]
	v_add_f64_e32 v[168:169], v[6:7], v[168:169]
	v_add_f64_e32 v[34:35], v[6:7], v[34:35]
	v_fma_f64 v[16:17], v[16:17], s[0:1], -v[56:57]
	v_add_f64_e32 v[181:182], v[6:7], v[181:182]
	v_add_f64_e32 v[6:7], v[6:7], v[52:53]
	;; [unrolled: 1-line block ×4, first 2 shown]
	v_fma_f64 v[56:57], v[66:67], s[20:21], v[108:109]
	v_fma_f64 v[70:71], v[82:83], s[4:5], v[118:119]
	;; [unrolled: 1-line block ×4, first 2 shown]
	v_fma_f64 v[76:77], v[82:83], s[12:13], -v[140:141]
	v_add_f64_e32 v[90:91], v[90:91], v[92:93]
	v_add_f64_e32 v[92:93], v[96:97], v[98:99]
	;; [unrolled: 1-line block ×3, first 2 shown]
	v_fma_f64 v[118:119], v[82:83], s[4:5], -v[118:119]
	v_add_f64_e32 v[62:63], v[62:63], v[160:161]
	v_add_f64_e32 v[160:161], v[164:165], v[166:167]
	;; [unrolled: 1-line block ×4, first 2 shown]
	v_mul_f64_e32 v[100:101], s[30:31], v[60:61]
	v_mul_f64_e32 v[44:45], s[12:13], v[44:45]
	v_fma_f64 v[199:200], v[80:81], s[0:1], v[102:103]
	v_fma_f64 v[102:103], v[80:81], s[0:1], -v[102:103]
	v_mul_f64_e32 v[60:61], s[18:19], v[60:61]
	v_add_f64_e32 v[18:19], v[18:19], v[26:27]
	v_add_f64_e32 v[8:9], v[8:9], v[24:25]
	v_add_f64_e32 v[12:13], v[12:13], v[179:180]
	v_fma_f64 v[24:25], v[66:67], s[18:19], v[136:137]
	v_fma_f64 v[26:27], v[82:83], s[12:13], v[140:141]
	v_add_f64_e32 v[40:41], v[40:41], v[120:121]
	v_add_f64_e32 v[120:121], v[134:135], v[122:123]
	;; [unrolled: 1-line block ×8, first 2 shown]
	v_fma_f64 v[136:137], v[66:67], s[26:27], v[48:49]
	v_fma_f64 v[48:49], v[66:67], s[30:31], v[48:49]
	;; [unrolled: 1-line block ×3, first 2 shown]
	v_fma_f64 v[54:55], v[82:83], s[22:23], -v[54:55]
	v_add_f64_e32 v[122:123], v[189:190], v[181:182]
	v_add_f64_e32 v[6:7], v[50:51], v[6:7]
	;; [unrolled: 1-line block ×4, first 2 shown]
	v_fma_f64 v[50:51], v[64:65], s[18:19], v[106:107]
	v_fma_f64 v[52:53], v[80:81], s[12:13], -v[114:115]
	v_fma_f64 v[130:131], v[64:65], s[14:15], v[146:147]
	v_fma_f64 v[134:135], v[80:81], s[4:5], -v[150:151]
	v_fma_f64 v[140:141], v[64:65], s[2:3], v[86:87]
	v_fma_f64 v[86:87], v[64:65], s[28:29], v[86:87]
	;; [unrolled: 1-line block ×4, first 2 shown]
	v_add_f64_e32 v[42:43], v[42:43], v[62:63]
	v_add_f64_e32 v[62:63], v[162:163], v[160:161]
	v_fma_f64 v[82:83], v[38:39], s[26:27], v[84:85]
	v_fma_f64 v[197:198], v[78:79], s[22:23], v[100:101]
	;; [unrolled: 1-line block ×3, first 2 shown]
	v_fma_f64 v[100:101], v[78:79], s[22:23], -v[100:101]
	v_add_f64_e32 v[18:19], v[18:19], v[22:23]
	v_add_f64_e32 v[8:9], v[8:9], v[28:29]
	v_fma_f64 v[22:23], v[64:65], s[16:17], v[106:107]
	v_fma_f64 v[28:29], v[80:81], s[12:13], v[114:115]
	;; [unrolled: 1-line block ×5, first 2 shown]
	v_fma_f64 v[150:151], v[80:81], s[22:23], -v[158:159]
	v_add_f64_e32 v[56:57], v[56:57], v[68:69]
	v_add_f64_e32 v[68:69], v[70:71], v[96:97]
	;; [unrolled: 1-line block ×5, first 2 shown]
	v_fma_f64 v[154:155], v[64:65], s[10:11], v[46:47]
	v_fma_f64 v[46:47], v[64:65], s[24:25], v[46:47]
	v_add_f64_e32 v[64:65], v[88:89], v[90:91]
	v_add_f64_e32 v[34:35], v[118:119], v[34:35]
	;; [unrolled: 1-line block ×4, first 2 shown]
	v_fma_f64 v[158:159], v[80:81], s[6:7], v[20:21]
	v_fma_f64 v[20:21], v[80:81], s[6:7], -v[20:21]
	v_add_f64_e32 v[80:81], v[94:95], v[92:93]
	v_add_f64_e32 v[70:71], v[193:194], v[98:99]
	;; [unrolled: 1-line block ×9, first 2 shown]
	v_fma_f64 v[48:49], v[38:39], s[28:29], v[104:105]
	v_fma_f64 v[108:109], v[38:39], s[20:21], v[152:153]
	v_fma_f64 v[110:111], v[78:79], s[4:5], -v[156:157]
	v_fma_f64 v[94:95], v[38:39], s[24:25], v[144:145]
	v_fma_f64 v[96:97], v[78:79], s[6:7], -v[148:149]
	v_fma_f64 v[54:55], v[78:79], s[0:1], -v[112:113]
	v_fma_f64 v[66:67], v[38:39], s[10:11], v[144:145]
	v_fma_f64 v[98:99], v[38:39], s[14:15], v[152:153]
	v_add_f64_e32 v[14:15], v[18:19], v[14:15]
	v_add_f64_e32 v[8:9], v[8:9], v[32:33]
	v_fma_f64 v[18:19], v[38:39], s[2:3], v[104:105]
	v_fma_f64 v[32:33], v[78:79], s[0:1], v[112:113]
	;; [unrolled: 1-line block ×4, first 2 shown]
	v_add_f64_e32 v[38:39], v[140:141], v[42:43]
	v_add_f64_e32 v[42:43], v[199:200], v[62:63]
	;; [unrolled: 1-line block ×7, first 2 shown]
	v_fma_f64 v[92:93], v[78:79], s[6:7], v[148:149]
	v_fma_f64 v[104:105], v[78:79], s[4:5], v[156:157]
	v_add_f64_e32 v[62:63], v[86:87], v[64:65]
	v_add_f64_e32 v[34:35], v[52:53], v[34:35]
	;; [unrolled: 1-line block ×4, first 2 shown]
	v_fma_f64 v[116:117], v[78:79], s[12:13], v[60:61]
	v_fma_f64 v[60:61], v[78:79], s[12:13], -v[60:61]
	v_add_f64_e32 v[64:65], v[102:103], v[80:81]
	v_add_f64_e32 v[50:51], v[106:107], v[70:71]
	;; [unrolled: 1-line block ×33, first 2 shown]
	ds_store_b128 v172, v[28:31] offset:5440
	ds_store_b128 v172, v[24:27] offset:8160
	ds_store_b128 v172, v[16:19] offset:10880
	ds_store_b128 v172, v[8:11] offset:13600
	ds_store_b128 v172, v[4:7] offset:16320
	ds_store_b128 v172, v[12:15] offset:19040
	ds_store_b128 v172, v[20:23] offset:21760
	ds_store_b128 v172, v[32:35] offset:24480
	ds_store_b128 v172, v[40:43] offset:2720
	ds_store_b128 v172, v[0:3]
	ds_store_b128 v172, v[36:39] offset:27200
.LBB0_23:
	s_or_b32 exec_lo, exec_lo, s33
	global_wb scope:SCOPE_SE
	s_wait_dscnt 0x0
	s_barrier_signal -1
	s_barrier_wait -1
	global_inv scope:SCOPE_SE
	s_and_saveexec_b32 s0, vcc_lo
	s_cbranch_execz .LBB0_25
; %bb.24:
	v_dual_mov_b32 v73, 0 :: v_dual_add_nc_u32 v8, 0xbb, v72
	v_add_co_u32 v36, vcc_lo, s8, v74
	v_lshl_add_u32 v34, v72, 4, 0
	s_delay_alu instid0(VALU_DEP_3) | instskip(SKIP_4) | instid1(VALU_DEP_4)
	v_lshlrev_b64_e32 v[0:1], 4, v[72:73]
	s_wait_alu 0xfffd
	v_add_co_ci_u32_e32 v37, vcc_lo, s9, v75, vcc_lo
	v_dual_mov_b32 v9, v73 :: v_dual_add_nc_u32 v10, 0x176, v72
	v_dual_mov_b32 v11, v73 :: v_dual_add_nc_u32 v22, 0x231, v72
	v_add_co_u32 v16, vcc_lo, v36, v0
	s_wait_alu 0xfffd
	v_add_co_ci_u32_e32 v17, vcc_lo, v37, v1, vcc_lo
	ds_load_b128 v[0:3], v34
	ds_load_b128 v[4:7], v34 offset:2992
	v_lshlrev_b64_e32 v[18:19], 4, v[8:9]
	v_lshlrev_b64_e32 v[20:21], 4, v[10:11]
	ds_load_b128 v[8:11], v34 offset:5984
	ds_load_b128 v[12:15], v34 offset:8976
	v_dual_mov_b32 v23, v73 :: v_dual_add_nc_u32 v24, 0x2ec, v72
	v_mov_b32_e32 v25, v73
	v_add_co_u32 v18, vcc_lo, v36, v18
	s_delay_alu instid0(VALU_DEP_3)
	v_lshlrev_b64_e32 v[22:23], 4, v[22:23]
	s_wait_alu 0xfffd
	v_add_co_ci_u32_e32 v19, vcc_lo, v37, v19, vcc_lo
	v_add_co_u32 v20, vcc_lo, v36, v20
	s_wait_alu 0xfffd
	v_add_co_ci_u32_e32 v21, vcc_lo, v37, v21, vcc_lo
	v_add_co_u32 v22, vcc_lo, v36, v22
	s_wait_dscnt 0x3
	global_store_b128 v[16:17], v[0:3], off
	s_wait_dscnt 0x2
	global_store_b128 v[18:19], v[4:7], off
	v_dual_mov_b32 v3, v73 :: v_dual_add_nc_u32 v2, 0x3a7, v72
	s_wait_alu 0xfffd
	v_add_co_ci_u32_e32 v23, vcc_lo, v37, v23, vcc_lo
	v_lshlrev_b64_e32 v[0:1], 4, v[24:25]
	s_wait_dscnt 0x1
	global_store_b128 v[20:21], v[8:11], off
	s_wait_dscnt 0x0
	global_store_b128 v[22:23], v[12:15], off
	v_add_nc_u32_e32 v10, 0x462, v72
	v_lshlrev_b64_e32 v[8:9], 4, v[2:3]
	v_dual_mov_b32 v11, v73 :: v_dual_add_nc_u32 v16, 0x51d, v72
	v_add_co_u32 v24, vcc_lo, v36, v0
	s_wait_alu 0xfffd
	v_add_co_ci_u32_e32 v25, vcc_lo, v37, v1, vcc_lo
	s_delay_alu instid0(VALU_DEP_4)
	v_add_co_u32 v26, vcc_lo, v36, v8
	s_wait_alu 0xfffd
	v_add_co_ci_u32_e32 v27, vcc_lo, v37, v9, vcc_lo
	v_lshlrev_b64_e32 v[8:9], 4, v[10:11]
	v_dual_mov_b32 v17, v73 :: v_dual_add_nc_u32 v18, 0x5d8, v72
	v_dual_mov_b32 v19, v73 :: v_dual_add_nc_u32 v72, 0x693, v72
	ds_load_b128 v[0:3], v34 offset:11968
	ds_load_b128 v[4:7], v34 offset:14960
	v_add_co_u32 v28, vcc_lo, v36, v8
	s_wait_alu 0xfffd
	v_add_co_ci_u32_e32 v29, vcc_lo, v37, v9, vcc_lo
	ds_load_b128 v[8:11], v34 offset:17952
	ds_load_b128 v[12:15], v34 offset:20944
	v_lshlrev_b64_e32 v[30:31], 4, v[16:17]
	v_lshlrev_b64_e32 v[32:33], 4, v[18:19]
	ds_load_b128 v[16:19], v34 offset:23936
	ds_load_b128 v[20:23], v34 offset:26928
	v_lshlrev_b64_e32 v[34:35], 4, v[72:73]
	v_add_co_u32 v30, vcc_lo, v36, v30
	s_wait_alu 0xfffd
	v_add_co_ci_u32_e32 v31, vcc_lo, v37, v31, vcc_lo
	v_add_co_u32 v32, vcc_lo, v36, v32
	s_wait_alu 0xfffd
	v_add_co_ci_u32_e32 v33, vcc_lo, v37, v33, vcc_lo
	;; [unrolled: 3-line block ×3, first 2 shown]
	s_wait_dscnt 0x5
	global_store_b128 v[24:25], v[0:3], off
	s_wait_dscnt 0x4
	global_store_b128 v[26:27], v[4:7], off
	;; [unrolled: 2-line block ×6, first 2 shown]
.LBB0_25:
	s_nop 0
	s_sendmsg sendmsg(MSG_DEALLOC_VGPRS)
	s_endpgm
	.section	.rodata,"a",@progbits
	.p2align	6, 0x0
	.amdhsa_kernel fft_rtc_fwd_len1870_factors_17_10_11_wgs_187_tpt_187_halfLds_dp_ip_CI_unitstride_sbrr_C2R_dirReg
		.amdhsa_group_segment_fixed_size 0
		.amdhsa_private_segment_fixed_size 0
		.amdhsa_kernarg_size 88
		.amdhsa_user_sgpr_count 2
		.amdhsa_user_sgpr_dispatch_ptr 0
		.amdhsa_user_sgpr_queue_ptr 0
		.amdhsa_user_sgpr_kernarg_segment_ptr 1
		.amdhsa_user_sgpr_dispatch_id 0
		.amdhsa_user_sgpr_private_segment_size 0
		.amdhsa_wavefront_size32 1
		.amdhsa_uses_dynamic_stack 0
		.amdhsa_enable_private_segment 0
		.amdhsa_system_sgpr_workgroup_id_x 1
		.amdhsa_system_sgpr_workgroup_id_y 0
		.amdhsa_system_sgpr_workgroup_id_z 0
		.amdhsa_system_sgpr_workgroup_info 0
		.amdhsa_system_vgpr_workitem_id 0
		.amdhsa_next_free_vgpr 205
		.amdhsa_next_free_sgpr 54
		.amdhsa_reserve_vcc 1
		.amdhsa_float_round_mode_32 0
		.amdhsa_float_round_mode_16_64 0
		.amdhsa_float_denorm_mode_32 3
		.amdhsa_float_denorm_mode_16_64 3
		.amdhsa_fp16_overflow 0
		.amdhsa_workgroup_processor_mode 1
		.amdhsa_memory_ordered 1
		.amdhsa_forward_progress 0
		.amdhsa_round_robin_scheduling 0
		.amdhsa_exception_fp_ieee_invalid_op 0
		.amdhsa_exception_fp_denorm_src 0
		.amdhsa_exception_fp_ieee_div_zero 0
		.amdhsa_exception_fp_ieee_overflow 0
		.amdhsa_exception_fp_ieee_underflow 0
		.amdhsa_exception_fp_ieee_inexact 0
		.amdhsa_exception_int_div_zero 0
	.end_amdhsa_kernel
	.text
.Lfunc_end0:
	.size	fft_rtc_fwd_len1870_factors_17_10_11_wgs_187_tpt_187_halfLds_dp_ip_CI_unitstride_sbrr_C2R_dirReg, .Lfunc_end0-fft_rtc_fwd_len1870_factors_17_10_11_wgs_187_tpt_187_halfLds_dp_ip_CI_unitstride_sbrr_C2R_dirReg
                                        ; -- End function
	.section	.AMDGPU.csdata,"",@progbits
; Kernel info:
; codeLenInByte = 12444
; NumSgprs: 56
; NumVgprs: 205
; ScratchSize: 0
; MemoryBound: 0
; FloatMode: 240
; IeeeMode: 1
; LDSByteSize: 0 bytes/workgroup (compile time only)
; SGPRBlocks: 6
; VGPRBlocks: 25
; NumSGPRsForWavesPerEU: 56
; NumVGPRsForWavesPerEU: 205
; Occupancy: 7
; WaveLimiterHint : 1
; COMPUTE_PGM_RSRC2:SCRATCH_EN: 0
; COMPUTE_PGM_RSRC2:USER_SGPR: 2
; COMPUTE_PGM_RSRC2:TRAP_HANDLER: 0
; COMPUTE_PGM_RSRC2:TGID_X_EN: 1
; COMPUTE_PGM_RSRC2:TGID_Y_EN: 0
; COMPUTE_PGM_RSRC2:TGID_Z_EN: 0
; COMPUTE_PGM_RSRC2:TIDIG_COMP_CNT: 0
	.text
	.p2alignl 7, 3214868480
	.fill 96, 4, 3214868480
	.type	__hip_cuid_fe7117403d4a4c1,@object ; @__hip_cuid_fe7117403d4a4c1
	.section	.bss,"aw",@nobits
	.globl	__hip_cuid_fe7117403d4a4c1
__hip_cuid_fe7117403d4a4c1:
	.byte	0                               ; 0x0
	.size	__hip_cuid_fe7117403d4a4c1, 1

	.ident	"AMD clang version 19.0.0git (https://github.com/RadeonOpenCompute/llvm-project roc-6.4.0 25133 c7fe45cf4b819c5991fe208aaa96edf142730f1d)"
	.section	".note.GNU-stack","",@progbits
	.addrsig
	.addrsig_sym __hip_cuid_fe7117403d4a4c1
	.amdgpu_metadata
---
amdhsa.kernels:
  - .args:
      - .actual_access:  read_only
        .address_space:  global
        .offset:         0
        .size:           8
        .value_kind:     global_buffer
      - .offset:         8
        .size:           8
        .value_kind:     by_value
      - .actual_access:  read_only
        .address_space:  global
        .offset:         16
        .size:           8
        .value_kind:     global_buffer
      - .actual_access:  read_only
        .address_space:  global
        .offset:         24
        .size:           8
        .value_kind:     global_buffer
      - .offset:         32
        .size:           8
        .value_kind:     by_value
      - .actual_access:  read_only
        .address_space:  global
        .offset:         40
        .size:           8
        .value_kind:     global_buffer
      - .actual_access:  read_only
        .address_space:  global
        .offset:         48
        .size:           8
        .value_kind:     global_buffer
      - .offset:         56
        .size:           4
        .value_kind:     by_value
      - .actual_access:  read_only
        .address_space:  global
        .offset:         64
        .size:           8
        .value_kind:     global_buffer
      - .actual_access:  read_only
        .address_space:  global
        .offset:         72
        .size:           8
        .value_kind:     global_buffer
      - .address_space:  global
        .offset:         80
        .size:           8
        .value_kind:     global_buffer
    .group_segment_fixed_size: 0
    .kernarg_segment_align: 8
    .kernarg_segment_size: 88
    .language:       OpenCL C
    .language_version:
      - 2
      - 0
    .max_flat_workgroup_size: 187
    .name:           fft_rtc_fwd_len1870_factors_17_10_11_wgs_187_tpt_187_halfLds_dp_ip_CI_unitstride_sbrr_C2R_dirReg
    .private_segment_fixed_size: 0
    .sgpr_count:     56
    .sgpr_spill_count: 0
    .symbol:         fft_rtc_fwd_len1870_factors_17_10_11_wgs_187_tpt_187_halfLds_dp_ip_CI_unitstride_sbrr_C2R_dirReg.kd
    .uniform_work_group_size: 1
    .uses_dynamic_stack: false
    .vgpr_count:     205
    .vgpr_spill_count: 0
    .wavefront_size: 32
    .workgroup_processor_mode: 1
amdhsa.target:   amdgcn-amd-amdhsa--gfx1201
amdhsa.version:
  - 1
  - 2
...

	.end_amdgpu_metadata
